;; amdgpu-corpus repo=ROCm/rocSPARSE kind=compiled arch=gfx1030 opt=O3
	.amdgcn_target "amdgcn-amd-amdhsa--gfx1030"
	.amdhsa_code_object_version 6
	.section	.text._ZN9rocsparseL18bsrxmvn_5x5_kernelILj50EfiifffEEvT2_20rocsparse_direction_NS_24const_host_device_scalarIT0_EES1_PKS1_PKT1_SA_S7_PKT3_PKT4_S5_PT5_21rocsparse_index_base_b,"axG",@progbits,_ZN9rocsparseL18bsrxmvn_5x5_kernelILj50EfiifffEEvT2_20rocsparse_direction_NS_24const_host_device_scalarIT0_EES1_PKS1_PKT1_SA_S7_PKT3_PKT4_S5_PT5_21rocsparse_index_base_b,comdat
	.globl	_ZN9rocsparseL18bsrxmvn_5x5_kernelILj50EfiifffEEvT2_20rocsparse_direction_NS_24const_host_device_scalarIT0_EES1_PKS1_PKT1_SA_S7_PKT3_PKT4_S5_PT5_21rocsparse_index_base_b ; -- Begin function _ZN9rocsparseL18bsrxmvn_5x5_kernelILj50EfiifffEEvT2_20rocsparse_direction_NS_24const_host_device_scalarIT0_EES1_PKS1_PKT1_SA_S7_PKT3_PKT4_S5_PT5_21rocsparse_index_base_b
	.p2align	8
	.type	_ZN9rocsparseL18bsrxmvn_5x5_kernelILj50EfiifffEEvT2_20rocsparse_direction_NS_24const_host_device_scalarIT0_EES1_PKS1_PKT1_SA_S7_PKT3_PKT4_S5_PT5_21rocsparse_index_base_b,@function
_ZN9rocsparseL18bsrxmvn_5x5_kernelILj50EfiifffEEvT2_20rocsparse_direction_NS_24const_host_device_scalarIT0_EES1_PKS1_PKT1_SA_S7_PKT3_PKT4_S5_PT5_21rocsparse_index_base_b: ; @_ZN9rocsparseL18bsrxmvn_5x5_kernelILj50EfiifffEEvT2_20rocsparse_direction_NS_24const_host_device_scalarIT0_EES1_PKS1_PKT1_SA_S7_PKT3_PKT4_S5_PT5_21rocsparse_index_base_b
; %bb.0:
	s_clause 0x2
	s_load_dwordx2 s[14:15], s[4:5], 0x58
	s_load_dwordx2 s[10:11], s[4:5], 0x8
	;; [unrolled: 1-line block ×3, first 2 shown]
	s_waitcnt lgkmcnt(0)
	s_bitcmp1_b32 s15, 0
	s_cselect_b32 s0, -1, 0
	s_and_b32 vcc_lo, exec_lo, s0
	s_xor_b32 s0, s0, -1
	s_cbranch_vccnz .LBB0_2
; %bb.1:
	s_load_dword s10, s[10:11], 0x0
.LBB0_2:
	s_andn2_b32 vcc_lo, exec_lo, s0
	s_cbranch_vccnz .LBB0_4
; %bb.3:
	s_load_dword s8, s[8:9], 0x0
.LBB0_4:
	s_waitcnt lgkmcnt(0)
	v_cmp_neq_f32_e64 s0, s10, 0
	v_cmp_neq_f32_e64 s1, s8, 1.0
	s_or_b32 s0, s0, s1
	s_andn2_b32 vcc_lo, exec_lo, s0
	s_cbranch_vccnz .LBB0_36
; %bb.5:
	s_clause 0x1
	s_load_dwordx4 s[0:3], s[4:5], 0x18
	s_load_dwordx2 s[12:13], s[4:5], 0x28
	s_waitcnt lgkmcnt(0)
	s_cmp_eq_u64 s[0:1], 0
	s_cbranch_scc1 .LBB0_7
; %bb.6:
	s_ashr_i32 s7, s6, 31
	s_lshl_b64 s[6:7], s[6:7], 2
	s_add_u32 s0, s0, s6
	s_addc_u32 s1, s1, s7
	s_load_dword s0, s[0:1], 0x0
	s_waitcnt lgkmcnt(0)
	s_sub_i32 s6, s0, s14
.LBB0_7:
	s_load_dword s0, s[4:5], 0x4
	v_mul_u32_u24_e32 v1, 0x3334, v0
	v_mov_b32_e32 v6, 0
	v_lshrrev_b32_e32 v1, 16, v1
	v_mul_lo_u16 v2, v1, 5
	v_sub_nc_u16 v7, v0, v2
	s_waitcnt lgkmcnt(0)
	s_cmp_eq_u32 s0, 1
	s_cselect_b32 vcc_lo, -1, 0
	s_cmp_lg_u32 s0, 1
	s_cselect_b32 s9, -1, 0
	s_ashr_i32 s7, s6, 31
	s_lshl_b64 s[0:1], s[6:7], 2
	s_add_u32 s2, s2, s0
	s_addc_u32 s3, s3, s1
	s_add_u32 s7, s2, 4
	s_addc_u32 s11, s3, 0
	;; [unrolled: 2-line block ×3, first 2 shown]
	s_cmp_eq_u64 s[12:13], 0
	s_load_dwordx2 s[12:13], s[4:5], 0x50
	s_cselect_b32 s1, s11, s1
	s_cselect_b32 s0, s7, s0
	s_load_dword s11, s[2:3], 0x0
	s_load_dword s7, s[0:1], 0x0
	s_waitcnt lgkmcnt(0)
	s_cmp_ge_i32 s11, s7
	s_cbranch_scc1 .LBB0_12
; %bb.8:
	v_mul_lo_u16 v2, v1, 52
	s_clause 0x1
	s_load_dwordx4 s[0:3], s[4:5], 0x30
	s_load_dwordx2 s[4:5], s[4:5], 0x40
	v_mov_b32_e32 v4, 0xa3e
	v_and_b32_e32 v5, 0xffff, v7
	s_mul_i32 s15, s14, 25
	v_lshrrev_b16 v2, 8, v2
	s_sub_i32 s7, s7, s14
	v_mul_u32_u24_sdwa v8, v0, v4 dst_sel:DWORD dst_unused:UNUSED_PAD src0_sel:WORD_0 src1_sel:DWORD
	v_mul_lo_u16 v2, v2, 5
	v_sub_nc_u16 v3, v1, v2
	v_mad_u64_u32 v[1:2], null, s11, 25, v[0:1]
	v_mov_b32_e32 v2, 0
	s_sub_i32 s11, s11, s14
	v_and_b32_e32 v3, 0xff, v3
	v_mov_b32_e32 v6, v2
	v_subrev_nc_u32_e32 v1, s15, v1
	v_cndmask_b32_e32 v3, v5, v3, vcc_lo
	s_inst_prefetch 0x1
	s_branch .LBB0_10
	.p2align	6
.LBB0_9:                                ;   in Loop: Header=BB0_10 Depth=1
	s_or_b32 exec_lo, exec_lo, s15
	v_add_nc_u32_e32 v1, 50, v1
	s_add_i32 s11, s11, 2
	s_cmp_ge_i32 s11, s7
	s_cbranch_scc1 .LBB0_12
.LBB0_10:                               ; =>This Inner Loop Header: Depth=1
	v_add_nc_u32_sdwa v4, v8, s11 dst_sel:DWORD dst_unused:UNUSED_PAD src0_sel:WORD_1 src1_sel:DWORD
	s_mov_b32 s15, exec_lo
	v_cmpx_gt_i32_e64 s7, v4
	s_cbranch_execz .LBB0_9
; %bb.11:                               ;   in Loop: Header=BB0_10 Depth=1
	v_ashrrev_i32_e32 v5, 31, v4
	v_lshlrev_b64 v[9:10], 2, v[1:2]
	v_lshlrev_b64 v[4:5], 2, v[4:5]
	s_waitcnt lgkmcnt(0)
	v_add_co_u32 v4, vcc_lo, s0, v4
	v_add_co_ci_u32_e64 v5, null, s1, v5, vcc_lo
	v_add_co_u32 v9, vcc_lo, s2, v9
	v_add_co_ci_u32_e64 v10, null, s3, v10, vcc_lo
	global_load_dword v4, v[4:5], off
	s_waitcnt vmcnt(0)
	v_subrev_nc_u32_e32 v4, s14, v4
	v_mad_u64_u32 v[4:5], null, v4, 5, v[3:4]
	v_ashrrev_i32_e32 v5, 31, v4
	v_lshlrev_b64 v[4:5], 2, v[4:5]
	v_add_co_u32 v4, vcc_lo, s4, v4
	v_add_co_ci_u32_e64 v5, null, s5, v5, vcc_lo
	global_load_dword v9, v[9:10], off
	global_load_dword v4, v[4:5], off
	s_waitcnt vmcnt(0)
	v_fmac_f32_e32 v6, v9, v4
	s_branch .LBB0_9
.LBB0_12:
	s_inst_prefetch 0x2
	v_lshlrev_b32_e32 v1, 2, v0
	s_and_b32 vcc_lo, exec_lo, s9
	ds_write_b32 v1, v6
	s_waitcnt lgkmcnt(0)
	buffer_gl0_inv
	s_cbranch_vccz .LBB0_22
; %bb.13:
	s_mov_b32 s0, exec_lo
	v_cmpx_gt_u32_e32 25, v0
	s_cbranch_execz .LBB0_15
; %bb.14:
	ds_read2_b32 v[2:3], v1 offset1:25
	s_waitcnt lgkmcnt(0)
	v_add_f32_e32 v2, v3, v2
	ds_write_b32 v1, v2
.LBB0_15:
	s_or_b32 exec_lo, exec_lo, s0
	s_mov_b32 s0, exec_lo
	s_waitcnt lgkmcnt(0)
	buffer_gl0_inv
	v_cmpx_eq_u16_e32 0, v7
	s_cbranch_execz .LBB0_17
; %bb.16:
	ds_read2_b32 v[2:3], v1 offset1:4
	s_waitcnt lgkmcnt(0)
	v_add_f32_e32 v2, v3, v2
	ds_write_b32 v1, v2
.LBB0_17:
	s_or_b32 exec_lo, exec_lo, s0
	s_mov_b32 s0, exec_lo
	s_waitcnt lgkmcnt(0)
	buffer_gl0_inv
	v_cmpx_gt_u16_e32 2, v7
	s_cbranch_execz .LBB0_19
; %bb.18:
	ds_read2_b32 v[2:3], v1 offset1:2
	s_waitcnt lgkmcnt(0)
	v_add_f32_e32 v2, v3, v2
	ds_write_b32 v1, v2
.LBB0_19:
	s_or_b32 exec_lo, exec_lo, s0
	v_mov_b32_e32 v2, v6
	s_mov_b32 s0, exec_lo
	s_waitcnt lgkmcnt(0)
	buffer_gl0_inv
	v_cmpx_gt_u32_e32 5, v0
	s_cbranch_execz .LBB0_21
; %bb.20:
	v_lshl_add_u32 v2, v0, 4, v1
	ds_read2_b32 v[2:3], v2 offset1:1
	s_waitcnt lgkmcnt(0)
	v_add_f32_e32 v2, v2, v3
.LBB0_21:
	s_or_b32 exec_lo, exec_lo, s0
	s_branch .LBB0_32
.LBB0_22:
                                        ; implicit-def: $vgpr2
	s_cbranch_execz .LBB0_32
; %bb.23:
	v_cmp_gt_u32_e32 vcc_lo, 10, v0
	s_and_saveexec_b32 s0, vcc_lo
	s_cbranch_execz .LBB0_25
; %bb.24:
	ds_read2_b32 v[2:3], v1 offset1:40
	s_waitcnt lgkmcnt(0)
	v_add_f32_e32 v2, v3, v2
	ds_write_b32 v1, v2
.LBB0_25:
	s_or_b32 exec_lo, exec_lo, s0
	s_mov_b32 s1, exec_lo
	s_waitcnt lgkmcnt(0)
	buffer_gl0_inv
	v_cmpx_gt_u32_e32 20, v0
	s_cbranch_execz .LBB0_27
; %bb.26:
	ds_read2_b32 v[2:3], v1 offset1:20
	s_waitcnt lgkmcnt(0)
	v_add_f32_e32 v2, v3, v2
	ds_write_b32 v1, v2
.LBB0_27:
	s_or_b32 exec_lo, exec_lo, s1
	s_waitcnt lgkmcnt(0)
	buffer_gl0_inv
	s_and_saveexec_b32 s0, vcc_lo
	s_cbranch_execz .LBB0_29
; %bb.28:
	ds_read2_b32 v[2:3], v1 offset1:10
	s_waitcnt lgkmcnt(0)
	v_add_f32_e32 v2, v3, v2
	ds_write_b32 v1, v2
.LBB0_29:
	s_or_b32 exec_lo, exec_lo, s0
	s_mov_b32 s0, exec_lo
	s_waitcnt lgkmcnt(0)
	buffer_gl0_inv
	v_cmpx_gt_u32_e32 5, v0
	s_cbranch_execz .LBB0_31
; %bb.30:
	ds_read2_b32 v[1:2], v1 offset1:5
	s_waitcnt lgkmcnt(0)
	v_add_f32_e32 v6, v1, v2
.LBB0_31:
	s_or_b32 exec_lo, exec_lo, s0
	v_mov_b32_e32 v2, v6
.LBB0_32:
	s_mov_b32 s0, exec_lo
	v_cmpx_gt_u32_e32 5, v0
	s_cbranch_execz .LBB0_36
; %bb.33:
	v_cmp_eq_f32_e64 s0, s8, 0
	v_mul_f32_e32 v1, s10, v2
	s_and_b32 vcc_lo, exec_lo, s0
	s_mov_b32 s0, 0
	s_cbranch_vccz .LBB0_37
; %bb.34:
	v_mad_u64_u32 v[2:3], null, s6, 5, v[0:1]
	v_mov_b32_e32 v3, 0
	v_lshlrev_b64 v[2:3], 2, v[2:3]
	v_add_co_u32 v2, vcc_lo, s12, v2
	v_add_co_ci_u32_e64 v3, null, s13, v3, vcc_lo
	global_store_dword v[2:3], v1, off
	s_andn2_b32 vcc_lo, exec_lo, s0
	s_cbranch_vccnz .LBB0_36
.LBB0_35:
	v_mad_u64_u32 v[2:3], null, s6, 5, v[0:1]
	v_mov_b32_e32 v3, 0
	v_lshlrev_b64 v[2:3], 2, v[2:3]
	v_add_co_u32 v2, vcc_lo, s12, v2
	v_add_co_ci_u32_e64 v3, null, s13, v3, vcc_lo
	global_load_dword v0, v[2:3], off
	s_waitcnt vmcnt(0)
	v_fmac_f32_e32 v1, s8, v0
	global_store_dword v[2:3], v1, off
.LBB0_36:
	s_endpgm
.LBB0_37:
	s_branch .LBB0_35
	.section	.rodata,"a",@progbits
	.p2align	6, 0x0
	.amdhsa_kernel _ZN9rocsparseL18bsrxmvn_5x5_kernelILj50EfiifffEEvT2_20rocsparse_direction_NS_24const_host_device_scalarIT0_EES1_PKS1_PKT1_SA_S7_PKT3_PKT4_S5_PT5_21rocsparse_index_base_b
		.amdhsa_group_segment_fixed_size 200
		.amdhsa_private_segment_fixed_size 0
		.amdhsa_kernarg_size 96
		.amdhsa_user_sgpr_count 6
		.amdhsa_user_sgpr_private_segment_buffer 1
		.amdhsa_user_sgpr_dispatch_ptr 0
		.amdhsa_user_sgpr_queue_ptr 0
		.amdhsa_user_sgpr_kernarg_segment_ptr 1
		.amdhsa_user_sgpr_dispatch_id 0
		.amdhsa_user_sgpr_flat_scratch_init 0
		.amdhsa_user_sgpr_private_segment_size 0
		.amdhsa_wavefront_size32 1
		.amdhsa_uses_dynamic_stack 0
		.amdhsa_system_sgpr_private_segment_wavefront_offset 0
		.amdhsa_system_sgpr_workgroup_id_x 1
		.amdhsa_system_sgpr_workgroup_id_y 0
		.amdhsa_system_sgpr_workgroup_id_z 0
		.amdhsa_system_sgpr_workgroup_info 0
		.amdhsa_system_vgpr_workitem_id 0
		.amdhsa_next_free_vgpr 11
		.amdhsa_next_free_sgpr 16
		.amdhsa_reserve_vcc 1
		.amdhsa_reserve_flat_scratch 0
		.amdhsa_float_round_mode_32 0
		.amdhsa_float_round_mode_16_64 0
		.amdhsa_float_denorm_mode_32 3
		.amdhsa_float_denorm_mode_16_64 3
		.amdhsa_dx10_clamp 1
		.amdhsa_ieee_mode 1
		.amdhsa_fp16_overflow 0
		.amdhsa_workgroup_processor_mode 1
		.amdhsa_memory_ordered 1
		.amdhsa_forward_progress 1
		.amdhsa_shared_vgpr_count 0
		.amdhsa_exception_fp_ieee_invalid_op 0
		.amdhsa_exception_fp_denorm_src 0
		.amdhsa_exception_fp_ieee_div_zero 0
		.amdhsa_exception_fp_ieee_overflow 0
		.amdhsa_exception_fp_ieee_underflow 0
		.amdhsa_exception_fp_ieee_inexact 0
		.amdhsa_exception_int_div_zero 0
	.end_amdhsa_kernel
	.section	.text._ZN9rocsparseL18bsrxmvn_5x5_kernelILj50EfiifffEEvT2_20rocsparse_direction_NS_24const_host_device_scalarIT0_EES1_PKS1_PKT1_SA_S7_PKT3_PKT4_S5_PT5_21rocsparse_index_base_b,"axG",@progbits,_ZN9rocsparseL18bsrxmvn_5x5_kernelILj50EfiifffEEvT2_20rocsparse_direction_NS_24const_host_device_scalarIT0_EES1_PKS1_PKT1_SA_S7_PKT3_PKT4_S5_PT5_21rocsparse_index_base_b,comdat
.Lfunc_end0:
	.size	_ZN9rocsparseL18bsrxmvn_5x5_kernelILj50EfiifffEEvT2_20rocsparse_direction_NS_24const_host_device_scalarIT0_EES1_PKS1_PKT1_SA_S7_PKT3_PKT4_S5_PT5_21rocsparse_index_base_b, .Lfunc_end0-_ZN9rocsparseL18bsrxmvn_5x5_kernelILj50EfiifffEEvT2_20rocsparse_direction_NS_24const_host_device_scalarIT0_EES1_PKS1_PKT1_SA_S7_PKT3_PKT4_S5_PT5_21rocsparse_index_base_b
                                        ; -- End function
	.set _ZN9rocsparseL18bsrxmvn_5x5_kernelILj50EfiifffEEvT2_20rocsparse_direction_NS_24const_host_device_scalarIT0_EES1_PKS1_PKT1_SA_S7_PKT3_PKT4_S5_PT5_21rocsparse_index_base_b.num_vgpr, 11
	.set _ZN9rocsparseL18bsrxmvn_5x5_kernelILj50EfiifffEEvT2_20rocsparse_direction_NS_24const_host_device_scalarIT0_EES1_PKS1_PKT1_SA_S7_PKT3_PKT4_S5_PT5_21rocsparse_index_base_b.num_agpr, 0
	.set _ZN9rocsparseL18bsrxmvn_5x5_kernelILj50EfiifffEEvT2_20rocsparse_direction_NS_24const_host_device_scalarIT0_EES1_PKS1_PKT1_SA_S7_PKT3_PKT4_S5_PT5_21rocsparse_index_base_b.numbered_sgpr, 16
	.set _ZN9rocsparseL18bsrxmvn_5x5_kernelILj50EfiifffEEvT2_20rocsparse_direction_NS_24const_host_device_scalarIT0_EES1_PKS1_PKT1_SA_S7_PKT3_PKT4_S5_PT5_21rocsparse_index_base_b.num_named_barrier, 0
	.set _ZN9rocsparseL18bsrxmvn_5x5_kernelILj50EfiifffEEvT2_20rocsparse_direction_NS_24const_host_device_scalarIT0_EES1_PKS1_PKT1_SA_S7_PKT3_PKT4_S5_PT5_21rocsparse_index_base_b.private_seg_size, 0
	.set _ZN9rocsparseL18bsrxmvn_5x5_kernelILj50EfiifffEEvT2_20rocsparse_direction_NS_24const_host_device_scalarIT0_EES1_PKS1_PKT1_SA_S7_PKT3_PKT4_S5_PT5_21rocsparse_index_base_b.uses_vcc, 1
	.set _ZN9rocsparseL18bsrxmvn_5x5_kernelILj50EfiifffEEvT2_20rocsparse_direction_NS_24const_host_device_scalarIT0_EES1_PKS1_PKT1_SA_S7_PKT3_PKT4_S5_PT5_21rocsparse_index_base_b.uses_flat_scratch, 0
	.set _ZN9rocsparseL18bsrxmvn_5x5_kernelILj50EfiifffEEvT2_20rocsparse_direction_NS_24const_host_device_scalarIT0_EES1_PKS1_PKT1_SA_S7_PKT3_PKT4_S5_PT5_21rocsparse_index_base_b.has_dyn_sized_stack, 0
	.set _ZN9rocsparseL18bsrxmvn_5x5_kernelILj50EfiifffEEvT2_20rocsparse_direction_NS_24const_host_device_scalarIT0_EES1_PKS1_PKT1_SA_S7_PKT3_PKT4_S5_PT5_21rocsparse_index_base_b.has_recursion, 0
	.set _ZN9rocsparseL18bsrxmvn_5x5_kernelILj50EfiifffEEvT2_20rocsparse_direction_NS_24const_host_device_scalarIT0_EES1_PKS1_PKT1_SA_S7_PKT3_PKT4_S5_PT5_21rocsparse_index_base_b.has_indirect_call, 0
	.section	.AMDGPU.csdata,"",@progbits
; Kernel info:
; codeLenInByte = 1216
; TotalNumSgprs: 18
; NumVgprs: 11
; ScratchSize: 0
; MemoryBound: 0
; FloatMode: 240
; IeeeMode: 1
; LDSByteSize: 200 bytes/workgroup (compile time only)
; SGPRBlocks: 0
; VGPRBlocks: 1
; NumSGPRsForWavesPerEU: 18
; NumVGPRsForWavesPerEU: 11
; Occupancy: 16
; WaveLimiterHint : 1
; COMPUTE_PGM_RSRC2:SCRATCH_EN: 0
; COMPUTE_PGM_RSRC2:USER_SGPR: 6
; COMPUTE_PGM_RSRC2:TRAP_HANDLER: 0
; COMPUTE_PGM_RSRC2:TGID_X_EN: 1
; COMPUTE_PGM_RSRC2:TGID_Y_EN: 0
; COMPUTE_PGM_RSRC2:TGID_Z_EN: 0
; COMPUTE_PGM_RSRC2:TIDIG_COMP_CNT: 0
	.section	.text._ZN9rocsparseL19sbsrxmvn_5x5_kernelILj256EL20rocsparse_direction_0EiiEEvT2_NS_24const_host_device_scalarIfEES2_PKS2_PKT1_S9_S6_PKfSB_S4_Pf21rocsparse_index_base_b,"axG",@progbits,_ZN9rocsparseL19sbsrxmvn_5x5_kernelILj256EL20rocsparse_direction_0EiiEEvT2_NS_24const_host_device_scalarIfEES2_PKS2_PKT1_S9_S6_PKfSB_S4_Pf21rocsparse_index_base_b,comdat
	.globl	_ZN9rocsparseL19sbsrxmvn_5x5_kernelILj256EL20rocsparse_direction_0EiiEEvT2_NS_24const_host_device_scalarIfEES2_PKS2_PKT1_S9_S6_PKfSB_S4_Pf21rocsparse_index_base_b ; -- Begin function _ZN9rocsparseL19sbsrxmvn_5x5_kernelILj256EL20rocsparse_direction_0EiiEEvT2_NS_24const_host_device_scalarIfEES2_PKS2_PKT1_S9_S6_PKfSB_S4_Pf21rocsparse_index_base_b
	.p2align	8
	.type	_ZN9rocsparseL19sbsrxmvn_5x5_kernelILj256EL20rocsparse_direction_0EiiEEvT2_NS_24const_host_device_scalarIfEES2_PKS2_PKT1_S9_S6_PKfSB_S4_Pf21rocsparse_index_base_b,@function
_ZN9rocsparseL19sbsrxmvn_5x5_kernelILj256EL20rocsparse_direction_0EiiEEvT2_NS_24const_host_device_scalarIfEES2_PKS2_PKT1_S9_S6_PKfSB_S4_Pf21rocsparse_index_base_b: ; @_ZN9rocsparseL19sbsrxmvn_5x5_kernelILj256EL20rocsparse_direction_0EiiEEvT2_NS_24const_host_device_scalarIfEES2_PKS2_PKT1_S9_S6_PKfSB_S4_Pf21rocsparse_index_base_b
; %bb.0:
	s_clause 0x2
	s_load_dwordx2 s[14:15], s[4:5], 0x58
	s_load_dwordx2 s[2:3], s[4:5], 0x8
	;; [unrolled: 1-line block ×3, first 2 shown]
	s_waitcnt lgkmcnt(0)
	s_bitcmp1_b32 s15, 0
	s_cselect_b32 s0, -1, 0
	s_and_b32 vcc_lo, exec_lo, s0
	s_xor_b32 s0, s0, -1
	s_cbranch_vccnz .LBB1_2
; %bb.1:
	s_load_dword s2, s[2:3], 0x0
.LBB1_2:
	s_andn2_b32 vcc_lo, exec_lo, s0
	s_cbranch_vccnz .LBB1_4
; %bb.3:
	s_load_dword s12, s[12:13], 0x0
.LBB1_4:
	s_waitcnt lgkmcnt(0)
	v_cmp_neq_f32_e64 s0, s2, 0
	v_cmp_neq_f32_e64 s1, s12, 1.0
	s_or_b32 s0, s0, s1
	s_andn2_b32 vcc_lo, exec_lo, s0
	s_cbranch_vccnz .LBB1_20
; %bb.5:
	s_clause 0x1
	s_load_dword s3, s[4:5], 0x6c
	s_load_dwordx2 s[0:1], s[4:5], 0x18
	s_waitcnt lgkmcnt(0)
	s_lshr_b32 s3, s3, 16
	s_cmp_eq_u64 s[0:1], 0
	v_mad_u64_u32 v[1:2], null, s6, s3, v[1:2]
	s_cbranch_scc1 .LBB1_7
; %bb.6:
	v_ashrrev_i32_e32 v2, 31, v1
	v_lshlrev_b64 v[1:2], 2, v[1:2]
	v_add_co_u32 v1, vcc_lo, s0, v1
	v_add_co_ci_u32_e64 v2, null, s1, v2, vcc_lo
	global_load_dword v1, v[1:2], off
	s_waitcnt vmcnt(0)
	v_subrev_nc_u32_e32 v1, s14, v1
.LBB1_7:
	s_load_dword s0, s[4:5], 0x0
	s_waitcnt lgkmcnt(0)
	v_cmp_gt_i32_e32 vcc_lo, s0, v1
	v_cmp_gt_u32_e64 s0, 25, v0
	s_and_b32 s0, vcc_lo, s0
	s_and_saveexec_b32 s1, s0
	s_cbranch_execz .LBB1_20
; %bb.8:
	s_clause 0x1
	s_load_dwordx4 s[8:11], s[4:5], 0x20
	s_load_dwordx2 s[6:7], s[4:5], 0x50
	v_ashrrev_i32_e32 v2, 31, v1
	v_mov_b32_e32 v10, 0
	s_mov_b32 s1, exec_lo
	v_lshlrev_b64 v[2:3], 2, v[1:2]
	s_waitcnt lgkmcnt(0)
	v_add_co_u32 v4, vcc_lo, s8, v2
	v_add_co_ci_u32_e64 v5, null, s9, v3, vcc_lo
	v_add_co_u32 v2, vcc_lo, s10, v2
	v_add_co_ci_u32_e64 v3, null, s11, v3, vcc_lo
	;; [unrolled: 2-line block ×3, first 2 shown]
	s_cmp_eq_u64 s[10:11], 0
	s_cselect_b32 vcc_lo, -1, 0
	v_cndmask_b32_e32 v3, v3, v7, vcc_lo
	v_cndmask_b32_e32 v2, v2, v6, vcc_lo
	global_load_dword v12, v[4:5], off
	global_load_dword v5, v[2:3], off
	v_mul_u32_u24_e32 v2, 0xcccd, v0
	v_lshrrev_b32_e32 v4, 18, v2
	v_mul_lo_u16 v2, v4, 5
	v_sub_nc_u16 v2, v0, v2
	v_and_b32_e32 v2, 0xffff, v2
	s_waitcnt vmcnt(0)
	v_cmpx_lt_i32_e64 v12, v5
	s_cbranch_execz .LBB1_18
; %bb.9:
	v_subrev_nc_u32_e32 v3, s14, v12
	s_load_dwordx4 s[8:11], s[4:5], 0x30
	v_subrev_nc_u32_e32 v11, s14, v5
	s_load_dwordx2 s[4:5], s[4:5], 0x40
	v_mov_b32_e32 v10, 0
	v_add_nc_u32_e32 v5, 1, v3
	s_mov_b32 s3, exec_lo
	v_max_i32_e32 v6, v5, v11
	v_and_b32_e32 v5, 0xffff, v4
	v_mul_u32_u24_e32 v4, 5, v2
	v_add_nc_u32_e32 v13, s14, v6
	v_add_lshl_u32 v4, v4, v5, 2
	v_sub_nc_u32_e32 v8, v13, v12
	s_waitcnt lgkmcnt(0)
	v_add_co_u32 v6, s0, s10, v4
	v_add_co_ci_u32_e64 v7, null, s11, 0, s0
	v_and_b32_e32 v8, 3, v8
	s_mov_b32 s10, 0
	v_mad_i64_i32 v[6:7], null, 0x64, v3, v[6:7]
	v_cmpx_ne_u32_e32 0, v8
	s_cbranch_execz .LBB1_13
; %bb.10:
	v_ashrrev_i32_e32 v4, 31, v3
	v_lshlrev_b64 v[9:10], 2, v[3:4]
	v_mul_u32_u24_e32 v4, 0x64, v8
	v_add_co_u32 v8, vcc_lo, s8, v9
	v_add_co_ci_u32_e64 v9, null, s9, v10, vcc_lo
	v_mov_b32_e32 v10, 0
	s_inst_prefetch 0x1
	.p2align	6
.LBB1_11:                               ; =>This Inner Loop Header: Depth=1
	global_load_dword v14, v[8:9], off
	v_add_nc_u32_e32 v4, 0xffffff9c, v4
	v_add_nc_u32_e32 v3, 1, v3
	v_cmp_eq_u32_e64 s0, 0, v4
	s_or_b32 s10, s0, s10
	s_waitcnt vmcnt(0)
	v_subrev_nc_u32_e32 v14, s14, v14
	v_mad_u64_u32 v[14:15], null, v14, 5, v[5:6]
	v_ashrrev_i32_e32 v15, 31, v14
	v_lshlrev_b64 v[14:15], 2, v[14:15]
	v_add_co_u32 v14, vcc_lo, s4, v14
	v_add_co_ci_u32_e64 v15, null, s5, v15, vcc_lo
	global_load_dword v16, v[6:7], off
	global_load_dword v14, v[14:15], off
	v_add_co_u32 v6, vcc_lo, 0x64, v6
	v_add_co_ci_u32_e64 v7, null, 0, v7, vcc_lo
	v_add_co_u32 v8, vcc_lo, v8, 4
	v_add_co_ci_u32_e64 v9, null, 0, v9, vcc_lo
	s_waitcnt vmcnt(0)
	v_fmac_f32_e32 v10, v16, v14
	s_andn2_b32 exec_lo, exec_lo, s10
	s_cbranch_execnz .LBB1_11
; %bb.12:
	s_inst_prefetch 0x2
	s_or_b32 exec_lo, exec_lo, s10
.LBB1_13:
	s_or_b32 exec_lo, exec_lo, s3
	v_sub_nc_u32_e32 v4, v12, v13
	s_mov_b32 s3, exec_lo
	v_cmpx_gt_u32_e32 -3, v4
	s_cbranch_execz .LBB1_17
; %bb.14:
	v_ashrrev_i32_e32 v4, 31, v3
	v_lshlrev_b64 v[8:9], 2, v[3:4]
	v_add_co_u32 v4, vcc_lo, s8, v8
	v_add_co_ci_u32_e64 v9, null, s9, v9, vcc_lo
	s_mov_b32 s8, 0
	v_add_co_u32 v8, vcc_lo, v4, 8
	v_add_co_ci_u32_e64 v9, null, 0, v9, vcc_lo
.LBB1_15:                               ; =>This Inner Loop Header: Depth=1
	global_load_dwordx4 v[12:15], v[8:9], off offset:-8
	s_clause 0x2
	global_load_dword v4, v[6:7], off
	global_load_dword v20, v[6:7], off offset:100
	global_load_dword v21, v[6:7], off offset:200
	v_add_nc_u32_e32 v3, 4, v3
	v_cmp_ge_i32_e64 s0, v3, v11
	s_or_b32 s8, s0, s8
	s_waitcnt vmcnt(3)
	v_subrev_nc_u32_e32 v12, s14, v12
	v_subrev_nc_u32_e32 v16, s14, v13
	;; [unrolled: 1-line block ×4, first 2 shown]
	v_mad_u64_u32 v[12:13], null, v12, 5, v[5:6]
	v_mad_u64_u32 v[14:15], null, v16, 5, v[5:6]
	;; [unrolled: 1-line block ×4, first 2 shown]
	v_ashrrev_i32_e32 v13, 31, v12
	v_ashrrev_i32_e32 v15, 31, v14
	;; [unrolled: 1-line block ×3, first 2 shown]
	v_lshlrev_b64 v[12:13], 2, v[12:13]
	v_ashrrev_i32_e32 v19, 31, v18
	v_lshlrev_b64 v[14:15], 2, v[14:15]
	v_lshlrev_b64 v[16:17], 2, v[16:17]
	;; [unrolled: 1-line block ×3, first 2 shown]
	v_add_co_u32 v12, vcc_lo, s4, v12
	v_add_co_ci_u32_e64 v13, null, s5, v13, vcc_lo
	v_add_co_u32 v14, vcc_lo, s4, v14
	v_add_co_ci_u32_e64 v15, null, s5, v15, vcc_lo
	global_load_dword v22, v[12:13], off
	v_add_co_u32 v12, vcc_lo, s4, v16
	global_load_dword v16, v[14:15], off
	v_add_co_ci_u32_e64 v13, null, s5, v17, vcc_lo
	v_add_co_u32 v14, vcc_lo, s4, v18
	v_add_co_ci_u32_e64 v15, null, s5, v19, vcc_lo
	global_load_dword v12, v[12:13], off
	global_load_dword v13, v[6:7], off offset:300
	global_load_dword v14, v[14:15], off
	v_add_co_u32 v6, vcc_lo, 0x190, v6
	v_add_co_ci_u32_e64 v7, null, 0, v7, vcc_lo
	v_add_co_u32 v8, vcc_lo, v8, 16
	v_add_co_ci_u32_e64 v9, null, 0, v9, vcc_lo
	s_waitcnt vmcnt(4)
	v_fmac_f32_e32 v10, v4, v22
	s_waitcnt vmcnt(3)
	v_fmac_f32_e32 v10, v20, v16
	s_waitcnt vmcnt(2)
	v_fmac_f32_e32 v10, v21, v12
	s_waitcnt vmcnt(0)
	v_fmac_f32_e32 v10, v13, v14
	s_andn2_b32 exec_lo, exec_lo, s8
	s_cbranch_execnz .LBB1_15
; %bb.16:
	s_or_b32 exec_lo, exec_lo, s8
.LBB1_17:
	s_or_b32 exec_lo, exec_lo, s3
.LBB1_18:
	s_or_b32 exec_lo, exec_lo, s1
	v_lshlrev_b32_e32 v6, 2, v2
	v_cmp_gt_u32_e32 vcc_lo, 5, v0
	ds_bpermute_b32 v3, v6, v10 offset:20
	ds_bpermute_b32 v4, v6, v10 offset:40
	;; [unrolled: 1-line block ×4, first 2 shown]
	s_and_b32 exec_lo, exec_lo, vcc_lo
	s_cbranch_execz .LBB1_20
; %bb.19:
	s_waitcnt lgkmcnt(3)
	v_mad_u64_u32 v[0:1], null, v1, 5, v[2:3]
	v_add_f32_e32 v3, v10, v3
	s_waitcnt lgkmcnt(2)
	v_add_f32_e32 v3, v3, v4
	v_ashrrev_i32_e32 v1, 31, v0
	s_waitcnt lgkmcnt(1)
	v_add_f32_e32 v3, v3, v5
	v_lshlrev_b64 v[0:1], 2, v[0:1]
	s_waitcnt lgkmcnt(0)
	v_add_f32_e32 v3, v3, v6
	v_add_co_u32 v0, vcc_lo, s6, v0
	v_add_co_ci_u32_e64 v1, null, s7, v1, vcc_lo
	global_load_dword v2, v[0:1], off
	s_waitcnt vmcnt(0)
	v_mul_f32_e32 v2, s12, v2
	v_fmac_f32_e32 v2, s2, v3
	global_store_dword v[0:1], v2, off
.LBB1_20:
	s_endpgm
	.section	.rodata,"a",@progbits
	.p2align	6, 0x0
	.amdhsa_kernel _ZN9rocsparseL19sbsrxmvn_5x5_kernelILj256EL20rocsparse_direction_0EiiEEvT2_NS_24const_host_device_scalarIfEES2_PKS2_PKT1_S9_S6_PKfSB_S4_Pf21rocsparse_index_base_b
		.amdhsa_group_segment_fixed_size 0
		.amdhsa_private_segment_fixed_size 0
		.amdhsa_kernarg_size 352
		.amdhsa_user_sgpr_count 6
		.amdhsa_user_sgpr_private_segment_buffer 1
		.amdhsa_user_sgpr_dispatch_ptr 0
		.amdhsa_user_sgpr_queue_ptr 0
		.amdhsa_user_sgpr_kernarg_segment_ptr 1
		.amdhsa_user_sgpr_dispatch_id 0
		.amdhsa_user_sgpr_flat_scratch_init 0
		.amdhsa_user_sgpr_private_segment_size 0
		.amdhsa_wavefront_size32 1
		.amdhsa_uses_dynamic_stack 0
		.amdhsa_system_sgpr_private_segment_wavefront_offset 0
		.amdhsa_system_sgpr_workgroup_id_x 1
		.amdhsa_system_sgpr_workgroup_id_y 0
		.amdhsa_system_sgpr_workgroup_id_z 0
		.amdhsa_system_sgpr_workgroup_info 0
		.amdhsa_system_vgpr_workitem_id 1
		.amdhsa_next_free_vgpr 23
		.amdhsa_next_free_sgpr 16
		.amdhsa_reserve_vcc 1
		.amdhsa_reserve_flat_scratch 0
		.amdhsa_float_round_mode_32 0
		.amdhsa_float_round_mode_16_64 0
		.amdhsa_float_denorm_mode_32 3
		.amdhsa_float_denorm_mode_16_64 3
		.amdhsa_dx10_clamp 1
		.amdhsa_ieee_mode 1
		.amdhsa_fp16_overflow 0
		.amdhsa_workgroup_processor_mode 1
		.amdhsa_memory_ordered 1
		.amdhsa_forward_progress 1
		.amdhsa_shared_vgpr_count 0
		.amdhsa_exception_fp_ieee_invalid_op 0
		.amdhsa_exception_fp_denorm_src 0
		.amdhsa_exception_fp_ieee_div_zero 0
		.amdhsa_exception_fp_ieee_overflow 0
		.amdhsa_exception_fp_ieee_underflow 0
		.amdhsa_exception_fp_ieee_inexact 0
		.amdhsa_exception_int_div_zero 0
	.end_amdhsa_kernel
	.section	.text._ZN9rocsparseL19sbsrxmvn_5x5_kernelILj256EL20rocsparse_direction_0EiiEEvT2_NS_24const_host_device_scalarIfEES2_PKS2_PKT1_S9_S6_PKfSB_S4_Pf21rocsparse_index_base_b,"axG",@progbits,_ZN9rocsparseL19sbsrxmvn_5x5_kernelILj256EL20rocsparse_direction_0EiiEEvT2_NS_24const_host_device_scalarIfEES2_PKS2_PKT1_S9_S6_PKfSB_S4_Pf21rocsparse_index_base_b,comdat
.Lfunc_end1:
	.size	_ZN9rocsparseL19sbsrxmvn_5x5_kernelILj256EL20rocsparse_direction_0EiiEEvT2_NS_24const_host_device_scalarIfEES2_PKS2_PKT1_S9_S6_PKfSB_S4_Pf21rocsparse_index_base_b, .Lfunc_end1-_ZN9rocsparseL19sbsrxmvn_5x5_kernelILj256EL20rocsparse_direction_0EiiEEvT2_NS_24const_host_device_scalarIfEES2_PKS2_PKT1_S9_S6_PKfSB_S4_Pf21rocsparse_index_base_b
                                        ; -- End function
	.set _ZN9rocsparseL19sbsrxmvn_5x5_kernelILj256EL20rocsparse_direction_0EiiEEvT2_NS_24const_host_device_scalarIfEES2_PKS2_PKT1_S9_S6_PKfSB_S4_Pf21rocsparse_index_base_b.num_vgpr, 23
	.set _ZN9rocsparseL19sbsrxmvn_5x5_kernelILj256EL20rocsparse_direction_0EiiEEvT2_NS_24const_host_device_scalarIfEES2_PKS2_PKT1_S9_S6_PKfSB_S4_Pf21rocsparse_index_base_b.num_agpr, 0
	.set _ZN9rocsparseL19sbsrxmvn_5x5_kernelILj256EL20rocsparse_direction_0EiiEEvT2_NS_24const_host_device_scalarIfEES2_PKS2_PKT1_S9_S6_PKfSB_S4_Pf21rocsparse_index_base_b.numbered_sgpr, 16
	.set _ZN9rocsparseL19sbsrxmvn_5x5_kernelILj256EL20rocsparse_direction_0EiiEEvT2_NS_24const_host_device_scalarIfEES2_PKS2_PKT1_S9_S6_PKfSB_S4_Pf21rocsparse_index_base_b.num_named_barrier, 0
	.set _ZN9rocsparseL19sbsrxmvn_5x5_kernelILj256EL20rocsparse_direction_0EiiEEvT2_NS_24const_host_device_scalarIfEES2_PKS2_PKT1_S9_S6_PKfSB_S4_Pf21rocsparse_index_base_b.private_seg_size, 0
	.set _ZN9rocsparseL19sbsrxmvn_5x5_kernelILj256EL20rocsparse_direction_0EiiEEvT2_NS_24const_host_device_scalarIfEES2_PKS2_PKT1_S9_S6_PKfSB_S4_Pf21rocsparse_index_base_b.uses_vcc, 1
	.set _ZN9rocsparseL19sbsrxmvn_5x5_kernelILj256EL20rocsparse_direction_0EiiEEvT2_NS_24const_host_device_scalarIfEES2_PKS2_PKT1_S9_S6_PKfSB_S4_Pf21rocsparse_index_base_b.uses_flat_scratch, 0
	.set _ZN9rocsparseL19sbsrxmvn_5x5_kernelILj256EL20rocsparse_direction_0EiiEEvT2_NS_24const_host_device_scalarIfEES2_PKS2_PKT1_S9_S6_PKfSB_S4_Pf21rocsparse_index_base_b.has_dyn_sized_stack, 0
	.set _ZN9rocsparseL19sbsrxmvn_5x5_kernelILj256EL20rocsparse_direction_0EiiEEvT2_NS_24const_host_device_scalarIfEES2_PKS2_PKT1_S9_S6_PKfSB_S4_Pf21rocsparse_index_base_b.has_recursion, 0
	.set _ZN9rocsparseL19sbsrxmvn_5x5_kernelILj256EL20rocsparse_direction_0EiiEEvT2_NS_24const_host_device_scalarIfEES2_PKS2_PKT1_S9_S6_PKfSB_S4_Pf21rocsparse_index_base_b.has_indirect_call, 0
	.section	.AMDGPU.csdata,"",@progbits
; Kernel info:
; codeLenInByte = 1288
; TotalNumSgprs: 18
; NumVgprs: 23
; ScratchSize: 0
; MemoryBound: 0
; FloatMode: 240
; IeeeMode: 1
; LDSByteSize: 0 bytes/workgroup (compile time only)
; SGPRBlocks: 0
; VGPRBlocks: 2
; NumSGPRsForWavesPerEU: 18
; NumVGPRsForWavesPerEU: 23
; Occupancy: 16
; WaveLimiterHint : 1
; COMPUTE_PGM_RSRC2:SCRATCH_EN: 0
; COMPUTE_PGM_RSRC2:USER_SGPR: 6
; COMPUTE_PGM_RSRC2:TRAP_HANDLER: 0
; COMPUTE_PGM_RSRC2:TGID_X_EN: 1
; COMPUTE_PGM_RSRC2:TGID_Y_EN: 0
; COMPUTE_PGM_RSRC2:TGID_Z_EN: 0
; COMPUTE_PGM_RSRC2:TIDIG_COMP_CNT: 1
	.section	.text._ZN9rocsparseL19sbsrxmvn_5x5_kernelILj256EL20rocsparse_direction_1EiiEEvT2_NS_24const_host_device_scalarIfEES2_PKS2_PKT1_S9_S6_PKfSB_S4_Pf21rocsparse_index_base_b,"axG",@progbits,_ZN9rocsparseL19sbsrxmvn_5x5_kernelILj256EL20rocsparse_direction_1EiiEEvT2_NS_24const_host_device_scalarIfEES2_PKS2_PKT1_S9_S6_PKfSB_S4_Pf21rocsparse_index_base_b,comdat
	.globl	_ZN9rocsparseL19sbsrxmvn_5x5_kernelILj256EL20rocsparse_direction_1EiiEEvT2_NS_24const_host_device_scalarIfEES2_PKS2_PKT1_S9_S6_PKfSB_S4_Pf21rocsparse_index_base_b ; -- Begin function _ZN9rocsparseL19sbsrxmvn_5x5_kernelILj256EL20rocsparse_direction_1EiiEEvT2_NS_24const_host_device_scalarIfEES2_PKS2_PKT1_S9_S6_PKfSB_S4_Pf21rocsparse_index_base_b
	.p2align	8
	.type	_ZN9rocsparseL19sbsrxmvn_5x5_kernelILj256EL20rocsparse_direction_1EiiEEvT2_NS_24const_host_device_scalarIfEES2_PKS2_PKT1_S9_S6_PKfSB_S4_Pf21rocsparse_index_base_b,@function
_ZN9rocsparseL19sbsrxmvn_5x5_kernelILj256EL20rocsparse_direction_1EiiEEvT2_NS_24const_host_device_scalarIfEES2_PKS2_PKT1_S9_S6_PKfSB_S4_Pf21rocsparse_index_base_b: ; @_ZN9rocsparseL19sbsrxmvn_5x5_kernelILj256EL20rocsparse_direction_1EiiEEvT2_NS_24const_host_device_scalarIfEES2_PKS2_PKT1_S9_S6_PKfSB_S4_Pf21rocsparse_index_base_b
; %bb.0:
	s_clause 0x2
	s_load_dwordx2 s[14:15], s[4:5], 0x58
	s_load_dwordx2 s[2:3], s[4:5], 0x8
	;; [unrolled: 1-line block ×3, first 2 shown]
	s_waitcnt lgkmcnt(0)
	s_bitcmp1_b32 s15, 0
	s_cselect_b32 s0, -1, 0
	s_and_b32 vcc_lo, exec_lo, s0
	s_xor_b32 s0, s0, -1
	s_cbranch_vccnz .LBB2_2
; %bb.1:
	s_load_dword s2, s[2:3], 0x0
.LBB2_2:
	s_andn2_b32 vcc_lo, exec_lo, s0
	s_cbranch_vccnz .LBB2_4
; %bb.3:
	s_load_dword s12, s[12:13], 0x0
.LBB2_4:
	s_waitcnt lgkmcnt(0)
	v_cmp_neq_f32_e64 s0, s2, 0
	v_cmp_neq_f32_e64 s1, s12, 1.0
	s_or_b32 s0, s0, s1
	s_andn2_b32 vcc_lo, exec_lo, s0
	s_cbranch_vccnz .LBB2_20
; %bb.5:
	s_clause 0x1
	s_load_dword s3, s[4:5], 0x6c
	s_load_dwordx2 s[0:1], s[4:5], 0x18
	s_waitcnt lgkmcnt(0)
	s_lshr_b32 s3, s3, 16
	s_cmp_eq_u64 s[0:1], 0
	v_mad_u64_u32 v[1:2], null, s6, s3, v[1:2]
	s_cbranch_scc1 .LBB2_7
; %bb.6:
	v_ashrrev_i32_e32 v2, 31, v1
	v_lshlrev_b64 v[1:2], 2, v[1:2]
	v_add_co_u32 v1, vcc_lo, s0, v1
	v_add_co_ci_u32_e64 v2, null, s1, v2, vcc_lo
	global_load_dword v1, v[1:2], off
	s_waitcnt vmcnt(0)
	v_subrev_nc_u32_e32 v1, s14, v1
.LBB2_7:
	s_load_dword s0, s[4:5], 0x0
	s_waitcnt lgkmcnt(0)
	v_cmp_gt_i32_e32 vcc_lo, s0, v1
	v_cmp_gt_u32_e64 s0, 25, v0
	s_and_b32 s0, vcc_lo, s0
	s_and_saveexec_b32 s1, s0
	s_cbranch_execz .LBB2_20
; %bb.8:
	s_clause 0x1
	s_load_dwordx4 s[8:11], s[4:5], 0x20
	s_load_dwordx2 s[6:7], s[4:5], 0x50
	v_ashrrev_i32_e32 v2, 31, v1
	v_mov_b32_e32 v10, 0
	s_mov_b32 s1, exec_lo
	v_lshlrev_b64 v[2:3], 2, v[1:2]
	s_waitcnt lgkmcnt(0)
	v_add_co_u32 v4, vcc_lo, s8, v2
	v_add_co_ci_u32_e64 v5, null, s9, v3, vcc_lo
	v_add_co_u32 v2, vcc_lo, s10, v2
	v_add_co_ci_u32_e64 v3, null, s11, v3, vcc_lo
	;; [unrolled: 2-line block ×3, first 2 shown]
	s_cmp_eq_u64 s[10:11], 0
	s_cselect_b32 vcc_lo, -1, 0
	v_cndmask_b32_e32 v3, v3, v7, vcc_lo
	v_cndmask_b32_e32 v2, v2, v6, vcc_lo
	global_load_dword v12, v[4:5], off
	global_load_dword v5, v[2:3], off
	v_mul_u32_u24_e32 v2, 0xcccd, v0
	v_lshrrev_b32_e32 v4, 18, v2
	v_mul_lo_u16 v2, v4, 5
	v_sub_nc_u16 v2, v0, v2
	v_and_b32_e32 v2, 0xffff, v2
	s_waitcnt vmcnt(0)
	v_cmpx_lt_i32_e64 v12, v5
	s_cbranch_execz .LBB2_18
; %bb.9:
	v_subrev_nc_u32_e32 v3, s14, v12
	s_load_dwordx4 s[8:11], s[4:5], 0x30
	v_subrev_nc_u32_e32 v11, s14, v5
	v_and_b32_e32 v5, 0xffff, v4
	s_load_dwordx2 s[4:5], s[4:5], 0x40
	v_add_nc_u32_e32 v6, 1, v3
	v_mov_b32_e32 v10, 0
	s_mov_b32 s3, exec_lo
	v_max_i32_e32 v4, v6, v11
	v_mul_u32_u24_e32 v6, 5, v5
	v_add_nc_u32_e32 v13, s14, v4
	v_add_lshl_u32 v4, v6, v2, 2
	v_sub_nc_u32_e32 v8, v13, v12
	s_waitcnt lgkmcnt(0)
	v_add_co_u32 v6, s0, s10, v4
	v_add_co_ci_u32_e64 v7, null, s11, 0, s0
	v_and_b32_e32 v8, 3, v8
	s_mov_b32 s10, 0
	v_mad_i64_i32 v[6:7], null, 0x64, v3, v[6:7]
	v_cmpx_ne_u32_e32 0, v8
	s_cbranch_execz .LBB2_13
; %bb.10:
	v_ashrrev_i32_e32 v4, 31, v3
	v_lshlrev_b64 v[9:10], 2, v[3:4]
	v_mul_u32_u24_e32 v4, 0x64, v8
	v_add_co_u32 v8, vcc_lo, s8, v9
	v_add_co_ci_u32_e64 v9, null, s9, v10, vcc_lo
	v_mov_b32_e32 v10, 0
	s_inst_prefetch 0x1
	.p2align	6
.LBB2_11:                               ; =>This Inner Loop Header: Depth=1
	global_load_dword v14, v[8:9], off
	v_add_nc_u32_e32 v4, 0xffffff9c, v4
	v_add_nc_u32_e32 v3, 1, v3
	v_cmp_eq_u32_e64 s0, 0, v4
	s_or_b32 s10, s0, s10
	s_waitcnt vmcnt(0)
	v_subrev_nc_u32_e32 v14, s14, v14
	v_mad_u64_u32 v[14:15], null, v14, 5, v[5:6]
	v_ashrrev_i32_e32 v15, 31, v14
	v_lshlrev_b64 v[14:15], 2, v[14:15]
	v_add_co_u32 v14, vcc_lo, s4, v14
	v_add_co_ci_u32_e64 v15, null, s5, v15, vcc_lo
	global_load_dword v16, v[6:7], off
	global_load_dword v14, v[14:15], off
	v_add_co_u32 v6, vcc_lo, 0x64, v6
	v_add_co_ci_u32_e64 v7, null, 0, v7, vcc_lo
	v_add_co_u32 v8, vcc_lo, v8, 4
	v_add_co_ci_u32_e64 v9, null, 0, v9, vcc_lo
	s_waitcnt vmcnt(0)
	v_fmac_f32_e32 v10, v16, v14
	s_andn2_b32 exec_lo, exec_lo, s10
	s_cbranch_execnz .LBB2_11
; %bb.12:
	s_inst_prefetch 0x2
	s_or_b32 exec_lo, exec_lo, s10
.LBB2_13:
	s_or_b32 exec_lo, exec_lo, s3
	v_sub_nc_u32_e32 v4, v12, v13
	s_mov_b32 s3, exec_lo
	v_cmpx_gt_u32_e32 -3, v4
	s_cbranch_execz .LBB2_17
; %bb.14:
	v_ashrrev_i32_e32 v4, 31, v3
	v_lshlrev_b64 v[8:9], 2, v[3:4]
	v_add_co_u32 v4, vcc_lo, s8, v8
	v_add_co_ci_u32_e64 v9, null, s9, v9, vcc_lo
	s_mov_b32 s8, 0
	v_add_co_u32 v8, vcc_lo, v4, 8
	v_add_co_ci_u32_e64 v9, null, 0, v9, vcc_lo
.LBB2_15:                               ; =>This Inner Loop Header: Depth=1
	global_load_dwordx4 v[12:15], v[8:9], off offset:-8
	s_clause 0x2
	global_load_dword v4, v[6:7], off
	global_load_dword v20, v[6:7], off offset:100
	global_load_dword v21, v[6:7], off offset:200
	v_add_nc_u32_e32 v3, 4, v3
	v_cmp_ge_i32_e64 s0, v3, v11
	s_or_b32 s8, s0, s8
	s_waitcnt vmcnt(3)
	v_subrev_nc_u32_e32 v12, s14, v12
	v_subrev_nc_u32_e32 v16, s14, v13
	;; [unrolled: 1-line block ×4, first 2 shown]
	v_mad_u64_u32 v[12:13], null, v12, 5, v[5:6]
	v_mad_u64_u32 v[14:15], null, v16, 5, v[5:6]
	;; [unrolled: 1-line block ×4, first 2 shown]
	v_ashrrev_i32_e32 v13, 31, v12
	v_ashrrev_i32_e32 v15, 31, v14
	;; [unrolled: 1-line block ×3, first 2 shown]
	v_lshlrev_b64 v[12:13], 2, v[12:13]
	v_ashrrev_i32_e32 v19, 31, v18
	v_lshlrev_b64 v[14:15], 2, v[14:15]
	v_lshlrev_b64 v[16:17], 2, v[16:17]
	;; [unrolled: 1-line block ×3, first 2 shown]
	v_add_co_u32 v12, vcc_lo, s4, v12
	v_add_co_ci_u32_e64 v13, null, s5, v13, vcc_lo
	v_add_co_u32 v14, vcc_lo, s4, v14
	v_add_co_ci_u32_e64 v15, null, s5, v15, vcc_lo
	global_load_dword v22, v[12:13], off
	v_add_co_u32 v12, vcc_lo, s4, v16
	global_load_dword v16, v[14:15], off
	v_add_co_ci_u32_e64 v13, null, s5, v17, vcc_lo
	v_add_co_u32 v14, vcc_lo, s4, v18
	v_add_co_ci_u32_e64 v15, null, s5, v19, vcc_lo
	global_load_dword v12, v[12:13], off
	global_load_dword v13, v[6:7], off offset:300
	global_load_dword v14, v[14:15], off
	v_add_co_u32 v6, vcc_lo, 0x190, v6
	v_add_co_ci_u32_e64 v7, null, 0, v7, vcc_lo
	v_add_co_u32 v8, vcc_lo, v8, 16
	v_add_co_ci_u32_e64 v9, null, 0, v9, vcc_lo
	s_waitcnt vmcnt(4)
	v_fmac_f32_e32 v10, v4, v22
	s_waitcnt vmcnt(3)
	v_fmac_f32_e32 v10, v20, v16
	;; [unrolled: 2-line block ×4, first 2 shown]
	s_andn2_b32 exec_lo, exec_lo, s8
	s_cbranch_execnz .LBB2_15
; %bb.16:
	s_or_b32 exec_lo, exec_lo, s8
.LBB2_17:
	s_or_b32 exec_lo, exec_lo, s3
.LBB2_18:
	s_or_b32 exec_lo, exec_lo, s1
	v_lshlrev_b32_e32 v6, 2, v2
	v_cmp_gt_u32_e32 vcc_lo, 5, v0
	ds_bpermute_b32 v3, v6, v10 offset:20
	ds_bpermute_b32 v4, v6, v10 offset:40
	;; [unrolled: 1-line block ×4, first 2 shown]
	s_and_b32 exec_lo, exec_lo, vcc_lo
	s_cbranch_execz .LBB2_20
; %bb.19:
	s_waitcnt lgkmcnt(3)
	v_mad_u64_u32 v[0:1], null, v1, 5, v[2:3]
	v_add_f32_e32 v3, v10, v3
	s_waitcnt lgkmcnt(2)
	v_add_f32_e32 v3, v3, v4
	v_ashrrev_i32_e32 v1, 31, v0
	s_waitcnt lgkmcnt(1)
	v_add_f32_e32 v3, v3, v5
	v_lshlrev_b64 v[0:1], 2, v[0:1]
	s_waitcnt lgkmcnt(0)
	v_add_f32_e32 v3, v3, v6
	v_add_co_u32 v0, vcc_lo, s6, v0
	v_add_co_ci_u32_e64 v1, null, s7, v1, vcc_lo
	global_load_dword v2, v[0:1], off
	s_waitcnt vmcnt(0)
	v_mul_f32_e32 v2, s12, v2
	v_fmac_f32_e32 v2, s2, v3
	global_store_dword v[0:1], v2, off
.LBB2_20:
	s_endpgm
	.section	.rodata,"a",@progbits
	.p2align	6, 0x0
	.amdhsa_kernel _ZN9rocsparseL19sbsrxmvn_5x5_kernelILj256EL20rocsparse_direction_1EiiEEvT2_NS_24const_host_device_scalarIfEES2_PKS2_PKT1_S9_S6_PKfSB_S4_Pf21rocsparse_index_base_b
		.amdhsa_group_segment_fixed_size 0
		.amdhsa_private_segment_fixed_size 0
		.amdhsa_kernarg_size 352
		.amdhsa_user_sgpr_count 6
		.amdhsa_user_sgpr_private_segment_buffer 1
		.amdhsa_user_sgpr_dispatch_ptr 0
		.amdhsa_user_sgpr_queue_ptr 0
		.amdhsa_user_sgpr_kernarg_segment_ptr 1
		.amdhsa_user_sgpr_dispatch_id 0
		.amdhsa_user_sgpr_flat_scratch_init 0
		.amdhsa_user_sgpr_private_segment_size 0
		.amdhsa_wavefront_size32 1
		.amdhsa_uses_dynamic_stack 0
		.amdhsa_system_sgpr_private_segment_wavefront_offset 0
		.amdhsa_system_sgpr_workgroup_id_x 1
		.amdhsa_system_sgpr_workgroup_id_y 0
		.amdhsa_system_sgpr_workgroup_id_z 0
		.amdhsa_system_sgpr_workgroup_info 0
		.amdhsa_system_vgpr_workitem_id 1
		.amdhsa_next_free_vgpr 23
		.amdhsa_next_free_sgpr 16
		.amdhsa_reserve_vcc 1
		.amdhsa_reserve_flat_scratch 0
		.amdhsa_float_round_mode_32 0
		.amdhsa_float_round_mode_16_64 0
		.amdhsa_float_denorm_mode_32 3
		.amdhsa_float_denorm_mode_16_64 3
		.amdhsa_dx10_clamp 1
		.amdhsa_ieee_mode 1
		.amdhsa_fp16_overflow 0
		.amdhsa_workgroup_processor_mode 1
		.amdhsa_memory_ordered 1
		.amdhsa_forward_progress 1
		.amdhsa_shared_vgpr_count 0
		.amdhsa_exception_fp_ieee_invalid_op 0
		.amdhsa_exception_fp_denorm_src 0
		.amdhsa_exception_fp_ieee_div_zero 0
		.amdhsa_exception_fp_ieee_overflow 0
		.amdhsa_exception_fp_ieee_underflow 0
		.amdhsa_exception_fp_ieee_inexact 0
		.amdhsa_exception_int_div_zero 0
	.end_amdhsa_kernel
	.section	.text._ZN9rocsparseL19sbsrxmvn_5x5_kernelILj256EL20rocsparse_direction_1EiiEEvT2_NS_24const_host_device_scalarIfEES2_PKS2_PKT1_S9_S6_PKfSB_S4_Pf21rocsparse_index_base_b,"axG",@progbits,_ZN9rocsparseL19sbsrxmvn_5x5_kernelILj256EL20rocsparse_direction_1EiiEEvT2_NS_24const_host_device_scalarIfEES2_PKS2_PKT1_S9_S6_PKfSB_S4_Pf21rocsparse_index_base_b,comdat
.Lfunc_end2:
	.size	_ZN9rocsparseL19sbsrxmvn_5x5_kernelILj256EL20rocsparse_direction_1EiiEEvT2_NS_24const_host_device_scalarIfEES2_PKS2_PKT1_S9_S6_PKfSB_S4_Pf21rocsparse_index_base_b, .Lfunc_end2-_ZN9rocsparseL19sbsrxmvn_5x5_kernelILj256EL20rocsparse_direction_1EiiEEvT2_NS_24const_host_device_scalarIfEES2_PKS2_PKT1_S9_S6_PKfSB_S4_Pf21rocsparse_index_base_b
                                        ; -- End function
	.set _ZN9rocsparseL19sbsrxmvn_5x5_kernelILj256EL20rocsparse_direction_1EiiEEvT2_NS_24const_host_device_scalarIfEES2_PKS2_PKT1_S9_S6_PKfSB_S4_Pf21rocsparse_index_base_b.num_vgpr, 23
	.set _ZN9rocsparseL19sbsrxmvn_5x5_kernelILj256EL20rocsparse_direction_1EiiEEvT2_NS_24const_host_device_scalarIfEES2_PKS2_PKT1_S9_S6_PKfSB_S4_Pf21rocsparse_index_base_b.num_agpr, 0
	.set _ZN9rocsparseL19sbsrxmvn_5x5_kernelILj256EL20rocsparse_direction_1EiiEEvT2_NS_24const_host_device_scalarIfEES2_PKS2_PKT1_S9_S6_PKfSB_S4_Pf21rocsparse_index_base_b.numbered_sgpr, 16
	.set _ZN9rocsparseL19sbsrxmvn_5x5_kernelILj256EL20rocsparse_direction_1EiiEEvT2_NS_24const_host_device_scalarIfEES2_PKS2_PKT1_S9_S6_PKfSB_S4_Pf21rocsparse_index_base_b.num_named_barrier, 0
	.set _ZN9rocsparseL19sbsrxmvn_5x5_kernelILj256EL20rocsparse_direction_1EiiEEvT2_NS_24const_host_device_scalarIfEES2_PKS2_PKT1_S9_S6_PKfSB_S4_Pf21rocsparse_index_base_b.private_seg_size, 0
	.set _ZN9rocsparseL19sbsrxmvn_5x5_kernelILj256EL20rocsparse_direction_1EiiEEvT2_NS_24const_host_device_scalarIfEES2_PKS2_PKT1_S9_S6_PKfSB_S4_Pf21rocsparse_index_base_b.uses_vcc, 1
	.set _ZN9rocsparseL19sbsrxmvn_5x5_kernelILj256EL20rocsparse_direction_1EiiEEvT2_NS_24const_host_device_scalarIfEES2_PKS2_PKT1_S9_S6_PKfSB_S4_Pf21rocsparse_index_base_b.uses_flat_scratch, 0
	.set _ZN9rocsparseL19sbsrxmvn_5x5_kernelILj256EL20rocsparse_direction_1EiiEEvT2_NS_24const_host_device_scalarIfEES2_PKS2_PKT1_S9_S6_PKfSB_S4_Pf21rocsparse_index_base_b.has_dyn_sized_stack, 0
	.set _ZN9rocsparseL19sbsrxmvn_5x5_kernelILj256EL20rocsparse_direction_1EiiEEvT2_NS_24const_host_device_scalarIfEES2_PKS2_PKT1_S9_S6_PKfSB_S4_Pf21rocsparse_index_base_b.has_recursion, 0
	.set _ZN9rocsparseL19sbsrxmvn_5x5_kernelILj256EL20rocsparse_direction_1EiiEEvT2_NS_24const_host_device_scalarIfEES2_PKS2_PKT1_S9_S6_PKfSB_S4_Pf21rocsparse_index_base_b.has_indirect_call, 0
	.section	.AMDGPU.csdata,"",@progbits
; Kernel info:
; codeLenInByte = 1288
; TotalNumSgprs: 18
; NumVgprs: 23
; ScratchSize: 0
; MemoryBound: 0
; FloatMode: 240
; IeeeMode: 1
; LDSByteSize: 0 bytes/workgroup (compile time only)
; SGPRBlocks: 0
; VGPRBlocks: 2
; NumSGPRsForWavesPerEU: 18
; NumVGPRsForWavesPerEU: 23
; Occupancy: 16
; WaveLimiterHint : 1
; COMPUTE_PGM_RSRC2:SCRATCH_EN: 0
; COMPUTE_PGM_RSRC2:USER_SGPR: 6
; COMPUTE_PGM_RSRC2:TRAP_HANDLER: 0
; COMPUTE_PGM_RSRC2:TGID_X_EN: 1
; COMPUTE_PGM_RSRC2:TGID_Y_EN: 0
; COMPUTE_PGM_RSRC2:TGID_Z_EN: 0
; COMPUTE_PGM_RSRC2:TIDIG_COMP_CNT: 1
	.section	.text._ZN9rocsparseL18bsrxmvn_5x5_kernelILj50EdiidddEEvT2_20rocsparse_direction_NS_24const_host_device_scalarIT0_EES1_PKS1_PKT1_SA_S7_PKT3_PKT4_S5_PT5_21rocsparse_index_base_b,"axG",@progbits,_ZN9rocsparseL18bsrxmvn_5x5_kernelILj50EdiidddEEvT2_20rocsparse_direction_NS_24const_host_device_scalarIT0_EES1_PKS1_PKT1_SA_S7_PKT3_PKT4_S5_PT5_21rocsparse_index_base_b,comdat
	.globl	_ZN9rocsparseL18bsrxmvn_5x5_kernelILj50EdiidddEEvT2_20rocsparse_direction_NS_24const_host_device_scalarIT0_EES1_PKS1_PKT1_SA_S7_PKT3_PKT4_S5_PT5_21rocsparse_index_base_b ; -- Begin function _ZN9rocsparseL18bsrxmvn_5x5_kernelILj50EdiidddEEvT2_20rocsparse_direction_NS_24const_host_device_scalarIT0_EES1_PKS1_PKT1_SA_S7_PKT3_PKT4_S5_PT5_21rocsparse_index_base_b
	.p2align	8
	.type	_ZN9rocsparseL18bsrxmvn_5x5_kernelILj50EdiidddEEvT2_20rocsparse_direction_NS_24const_host_device_scalarIT0_EES1_PKS1_PKT1_SA_S7_PKT3_PKT4_S5_PT5_21rocsparse_index_base_b,@function
_ZN9rocsparseL18bsrxmvn_5x5_kernelILj50EdiidddEEvT2_20rocsparse_direction_NS_24const_host_device_scalarIT0_EES1_PKS1_PKT1_SA_S7_PKT3_PKT4_S5_PT5_21rocsparse_index_base_b: ; @_ZN9rocsparseL18bsrxmvn_5x5_kernelILj50EdiidddEEvT2_20rocsparse_direction_NS_24const_host_device_scalarIT0_EES1_PKS1_PKT1_SA_S7_PKT3_PKT4_S5_PT5_21rocsparse_index_base_b
; %bb.0:
	s_clause 0x2
	s_load_dwordx2 s[10:11], s[4:5], 0x58
	s_load_dwordx2 s[2:3], s[4:5], 0x8
	;; [unrolled: 1-line block ×3, first 2 shown]
	s_waitcnt lgkmcnt(0)
	s_bitcmp1_b32 s11, 0
	v_mov_b32_e32 v4, s3
	v_mov_b32_e32 v3, s2
	s_cselect_b32 s7, -1, 0
	s_and_b32 vcc_lo, exec_lo, s7
	s_xor_b32 s7, s7, -1
	s_cbranch_vccnz .LBB3_2
; %bb.1:
	v_mov_b32_e32 v1, s2
	v_mov_b32_e32 v2, s3
	flat_load_dwordx2 v[3:4], v[1:2]
.LBB3_2:
	v_mov_b32_e32 v2, s1
	v_mov_b32_e32 v1, s0
	s_andn2_b32 vcc_lo, exec_lo, s7
	s_cbranch_vccnz .LBB3_4
; %bb.3:
	v_mov_b32_e32 v2, s1
	v_mov_b32_e32 v1, s0
	flat_load_dwordx2 v[1:2], v[1:2]
.LBB3_4:
	s_waitcnt vmcnt(0) lgkmcnt(0)
	v_cmp_neq_f64_e32 vcc_lo, 0, v[3:4]
	v_cmp_neq_f64_e64 s0, 1.0, v[1:2]
	s_or_b32 s0, vcc_lo, s0
	s_and_saveexec_b32 s1, s0
	s_cbranch_execz .LBB3_37
; %bb.5:
	s_clause 0x1
	s_load_dwordx4 s[0:3], s[4:5], 0x18
	s_load_dwordx2 s[8:9], s[4:5], 0x28
	s_waitcnt lgkmcnt(0)
	s_cmp_eq_u64 s[0:1], 0
	s_cbranch_scc1 .LBB3_7
; %bb.6:
	s_ashr_i32 s7, s6, 31
	s_lshl_b64 s[6:7], s[6:7], 2
	s_add_u32 s0, s0, s6
	s_addc_u32 s1, s1, s7
	s_load_dword s0, s[0:1], 0x0
	s_waitcnt lgkmcnt(0)
	s_sub_i32 s6, s0, s10
.LBB3_7:
	s_load_dword s0, s[4:5], 0x4
	v_mul_u32_u24_e32 v5, 0x3334, v0
	v_lshrrev_b32_e32 v7, 16, v5
	v_mov_b32_e32 v5, 0
	v_mov_b32_e32 v6, 0
	v_mul_lo_u16 v8, v7, 5
	v_sub_nc_u16 v12, v0, v8
	s_waitcnt lgkmcnt(0)
	s_cmp_eq_u32 s0, 1
	s_cselect_b32 vcc_lo, -1, 0
	s_cmp_lg_u32 s0, 1
	s_cselect_b32 s11, -1, 0
	s_ashr_i32 s7, s6, 31
	s_lshl_b64 s[0:1], s[6:7], 2
	s_add_u32 s2, s2, s0
	s_addc_u32 s3, s3, s1
	s_add_u32 s7, s2, 4
	s_addc_u32 s12, s3, 0
	;; [unrolled: 2-line block ×3, first 2 shown]
	s_cmp_eq_u64 s[8:9], 0
	s_cselect_b32 s1, s12, s1
	s_cselect_b32 s0, s7, s0
	s_load_dword s12, s[2:3], 0x0
	s_load_dword s7, s[0:1], 0x0
	s_load_dwordx2 s[8:9], s[4:5], 0x50
	s_waitcnt lgkmcnt(0)
	s_cmp_ge_i32 s12, s7
	s_cbranch_scc1 .LBB3_12
; %bb.8:
	v_mul_lo_u16 v5, v7, 52
	s_clause 0x1
	s_load_dwordx4 s[0:3], s[4:5], 0x30
	s_load_dwordx2 s[4:5], s[4:5], 0x40
	v_and_b32_e32 v9, 0xffff, v12
	s_mul_i32 s13, s10, 25
	s_sub_i32 s7, s7, s10
	v_lshrrev_b16 v5, 8, v5
	v_mul_lo_u16 v5, v5, 5
	v_sub_nc_u16 v5, v7, v5
	v_mad_u64_u32 v[7:8], null, s12, 25, v[0:1]
	v_mov_b32_e32 v8, 0xa3e
	s_sub_i32 s12, s12, s10
	v_and_b32_e32 v10, 0xff, v5
	v_mov_b32_e32 v5, 0
	v_mov_b32_e32 v6, 0
	v_mul_u32_u24_sdwa v13, v0, v8 dst_sel:DWORD dst_unused:UNUSED_PAD src0_sel:WORD_0 src1_sel:DWORD
	v_subrev_nc_u32_e32 v7, s13, v7
	v_cndmask_b32_e32 v9, v9, v10, vcc_lo
	v_mov_b32_e32 v8, 0
	s_inst_prefetch 0x1
	s_branch .LBB3_10
	.p2align	6
.LBB3_9:                                ;   in Loop: Header=BB3_10 Depth=1
	s_or_b32 exec_lo, exec_lo, s13
	v_add_nc_u32_e32 v7, 50, v7
	s_add_i32 s12, s12, 2
	s_cmp_ge_i32 s12, s7
	s_cbranch_scc1 .LBB3_12
.LBB3_10:                               ; =>This Inner Loop Header: Depth=1
	v_add_nc_u32_sdwa v10, v13, s12 dst_sel:DWORD dst_unused:UNUSED_PAD src0_sel:WORD_1 src1_sel:DWORD
	s_mov_b32 s13, exec_lo
	v_cmpx_gt_i32_e64 s7, v10
	s_cbranch_execz .LBB3_9
; %bb.11:                               ;   in Loop: Header=BB3_10 Depth=1
	v_ashrrev_i32_e32 v11, 31, v10
	v_lshlrev_b64 v[14:15], 3, v[7:8]
	v_lshlrev_b64 v[10:11], 2, v[10:11]
	s_waitcnt lgkmcnt(0)
	v_add_co_u32 v10, vcc_lo, s0, v10
	v_add_co_ci_u32_e64 v11, null, s1, v11, vcc_lo
	v_add_co_u32 v14, vcc_lo, s2, v14
	v_add_co_ci_u32_e64 v15, null, s3, v15, vcc_lo
	global_load_dword v10, v[10:11], off
	s_waitcnt vmcnt(0)
	v_subrev_nc_u32_e32 v10, s10, v10
	v_mad_u64_u32 v[10:11], null, v10, 5, v[9:10]
	v_ashrrev_i32_e32 v11, 31, v10
	v_lshlrev_b64 v[10:11], 3, v[10:11]
	v_add_co_u32 v10, vcc_lo, s4, v10
	v_add_co_ci_u32_e64 v11, null, s5, v11, vcc_lo
	global_load_dwordx2 v[14:15], v[14:15], off
	global_load_dwordx2 v[10:11], v[10:11], off
	s_waitcnt vmcnt(0)
	v_fma_f64 v[5:6], v[14:15], v[10:11], v[5:6]
	s_branch .LBB3_9
.LBB3_12:
	s_inst_prefetch 0x2
	v_lshlrev_b32_e32 v9, 3, v0
	s_and_b32 vcc_lo, exec_lo, s11
	ds_write_b64 v9, v[5:6]
	s_waitcnt lgkmcnt(0)
	buffer_gl0_inv
	s_cbranch_vccz .LBB3_22
; %bb.13:
	s_mov_b32 s0, exec_lo
	v_cmpx_gt_u32_e32 25, v0
	s_cbranch_execz .LBB3_15
; %bb.14:
	ds_read2_b64 v[13:16], v9 offset1:25
	s_waitcnt lgkmcnt(0)
	v_add_f64 v[7:8], v[15:16], v[13:14]
	ds_write_b64 v9, v[7:8]
.LBB3_15:
	s_or_b32 exec_lo, exec_lo, s0
	s_mov_b32 s0, exec_lo
	s_waitcnt lgkmcnt(0)
	buffer_gl0_inv
	v_cmpx_eq_u16_e32 0, v12
	s_cbranch_execz .LBB3_17
; %bb.16:
	ds_read2_b64 v[13:16], v9 offset1:4
	s_waitcnt lgkmcnt(0)
	v_add_f64 v[7:8], v[15:16], v[13:14]
	ds_write_b64 v9, v[7:8]
.LBB3_17:
	s_or_b32 exec_lo, exec_lo, s0
	s_mov_b32 s0, exec_lo
	s_waitcnt lgkmcnt(0)
	buffer_gl0_inv
	v_cmpx_gt_u16_e32 2, v12
	s_cbranch_execz .LBB3_19
; %bb.18:
	ds_read2_b64 v[10:13], v9 offset1:2
	s_waitcnt lgkmcnt(0)
	v_add_f64 v[7:8], v[12:13], v[10:11]
	ds_write_b64 v9, v[7:8]
.LBB3_19:
	s_or_b32 exec_lo, exec_lo, s0
	v_mov_b32_e32 v8, v6
	v_mov_b32_e32 v7, v5
	s_mov_b32 s0, exec_lo
	s_waitcnt lgkmcnt(0)
	buffer_gl0_inv
	v_cmpx_gt_u32_e32 5, v0
	s_cbranch_execz .LBB3_21
; %bb.20:
	v_lshl_add_u32 v7, v0, 5, v9
	ds_read2_b64 v[10:13], v7 offset1:1
	s_waitcnt lgkmcnt(0)
	v_add_f64 v[7:8], v[10:11], v[12:13]
.LBB3_21:
	s_or_b32 exec_lo, exec_lo, s0
	s_branch .LBB3_32
.LBB3_22:
                                        ; implicit-def: $vgpr7_vgpr8
	s_cbranch_execz .LBB3_32
; %bb.23:
	v_cmp_gt_u32_e32 vcc_lo, 10, v0
	s_and_saveexec_b32 s0, vcc_lo
	s_cbranch_execz .LBB3_25
; %bb.24:
	ds_read2_b64 v[10:13], v9 offset1:40
	s_waitcnt lgkmcnt(0)
	v_add_f64 v[7:8], v[12:13], v[10:11]
	ds_write_b64 v9, v[7:8]
.LBB3_25:
	s_or_b32 exec_lo, exec_lo, s0
	s_mov_b32 s1, exec_lo
	s_waitcnt lgkmcnt(0)
	buffer_gl0_inv
	v_cmpx_gt_u32_e32 20, v0
	s_cbranch_execz .LBB3_27
; %bb.26:
	ds_read2_b64 v[10:13], v9 offset1:20
	s_waitcnt lgkmcnt(0)
	v_add_f64 v[7:8], v[12:13], v[10:11]
	ds_write_b64 v9, v[7:8]
.LBB3_27:
	s_or_b32 exec_lo, exec_lo, s1
	s_waitcnt lgkmcnt(0)
	buffer_gl0_inv
	s_and_saveexec_b32 s0, vcc_lo
	s_cbranch_execz .LBB3_29
; %bb.28:
	ds_read2_b64 v[10:13], v9 offset1:10
	s_waitcnt lgkmcnt(0)
	v_add_f64 v[7:8], v[12:13], v[10:11]
	ds_write_b64 v9, v[7:8]
.LBB3_29:
	s_or_b32 exec_lo, exec_lo, s0
	s_mov_b32 s0, exec_lo
	s_waitcnt lgkmcnt(0)
	buffer_gl0_inv
	v_cmpx_gt_u32_e32 5, v0
	s_cbranch_execz .LBB3_31
; %bb.30:
	ds_read2_b64 v[5:8], v9 offset1:5
	s_waitcnt lgkmcnt(0)
	v_add_f64 v[5:6], v[5:6], v[7:8]
.LBB3_31:
	s_or_b32 exec_lo, exec_lo, s0
	v_mov_b32_e32 v8, v6
	v_mov_b32_e32 v7, v5
.LBB3_32:
	v_cmp_gt_u32_e32 vcc_lo, 5, v0
	s_and_b32 exec_lo, exec_lo, vcc_lo
	s_cbranch_execz .LBB3_37
; %bb.33:
	v_mul_f64 v[3:4], v[3:4], v[7:8]
	s_mov_b32 s0, exec_lo
	v_cmpx_eq_f64_e32 0, v[1:2]
	s_xor_b32 s0, exec_lo, s0
	s_cbranch_execz .LBB3_35
; %bb.34:
	v_mad_u64_u32 v[0:1], null, s6, 5, v[0:1]
	v_mov_b32_e32 v1, 0
	v_lshlrev_b64 v[0:1], 3, v[0:1]
	v_add_co_u32 v0, vcc_lo, s8, v0
	v_add_co_ci_u32_e64 v1, null, s9, v1, vcc_lo
	global_store_dwordx2 v[0:1], v[3:4], off
                                        ; implicit-def: $vgpr0
                                        ; implicit-def: $vgpr1_vgpr2
                                        ; implicit-def: $vgpr3_vgpr4
.LBB3_35:
	s_andn2_saveexec_b32 s0, s0
	s_cbranch_execz .LBB3_37
; %bb.36:
	v_mad_u64_u32 v[5:6], null, s6, 5, v[0:1]
	v_mov_b32_e32 v6, 0
	v_lshlrev_b64 v[5:6], 3, v[5:6]
	v_add_co_u32 v5, vcc_lo, s8, v5
	v_add_co_ci_u32_e64 v6, null, s9, v6, vcc_lo
	global_load_dwordx2 v[7:8], v[5:6], off
	s_waitcnt vmcnt(0)
	v_fma_f64 v[0:1], v[1:2], v[7:8], v[3:4]
	global_store_dwordx2 v[5:6], v[0:1], off
.LBB3_37:
	s_endpgm
	.section	.rodata,"a",@progbits
	.p2align	6, 0x0
	.amdhsa_kernel _ZN9rocsparseL18bsrxmvn_5x5_kernelILj50EdiidddEEvT2_20rocsparse_direction_NS_24const_host_device_scalarIT0_EES1_PKS1_PKT1_SA_S7_PKT3_PKT4_S5_PT5_21rocsparse_index_base_b
		.amdhsa_group_segment_fixed_size 400
		.amdhsa_private_segment_fixed_size 0
		.amdhsa_kernarg_size 96
		.amdhsa_user_sgpr_count 6
		.amdhsa_user_sgpr_private_segment_buffer 1
		.amdhsa_user_sgpr_dispatch_ptr 0
		.amdhsa_user_sgpr_queue_ptr 0
		.amdhsa_user_sgpr_kernarg_segment_ptr 1
		.amdhsa_user_sgpr_dispatch_id 0
		.amdhsa_user_sgpr_flat_scratch_init 0
		.amdhsa_user_sgpr_private_segment_size 0
		.amdhsa_wavefront_size32 1
		.amdhsa_uses_dynamic_stack 0
		.amdhsa_system_sgpr_private_segment_wavefront_offset 0
		.amdhsa_system_sgpr_workgroup_id_x 1
		.amdhsa_system_sgpr_workgroup_id_y 0
		.amdhsa_system_sgpr_workgroup_id_z 0
		.amdhsa_system_sgpr_workgroup_info 0
		.amdhsa_system_vgpr_workitem_id 0
		.amdhsa_next_free_vgpr 17
		.amdhsa_next_free_sgpr 14
		.amdhsa_reserve_vcc 1
		.amdhsa_reserve_flat_scratch 0
		.amdhsa_float_round_mode_32 0
		.amdhsa_float_round_mode_16_64 0
		.amdhsa_float_denorm_mode_32 3
		.amdhsa_float_denorm_mode_16_64 3
		.amdhsa_dx10_clamp 1
		.amdhsa_ieee_mode 1
		.amdhsa_fp16_overflow 0
		.amdhsa_workgroup_processor_mode 1
		.amdhsa_memory_ordered 1
		.amdhsa_forward_progress 1
		.amdhsa_shared_vgpr_count 0
		.amdhsa_exception_fp_ieee_invalid_op 0
		.amdhsa_exception_fp_denorm_src 0
		.amdhsa_exception_fp_ieee_div_zero 0
		.amdhsa_exception_fp_ieee_overflow 0
		.amdhsa_exception_fp_ieee_underflow 0
		.amdhsa_exception_fp_ieee_inexact 0
		.amdhsa_exception_int_div_zero 0
	.end_amdhsa_kernel
	.section	.text._ZN9rocsparseL18bsrxmvn_5x5_kernelILj50EdiidddEEvT2_20rocsparse_direction_NS_24const_host_device_scalarIT0_EES1_PKS1_PKT1_SA_S7_PKT3_PKT4_S5_PT5_21rocsparse_index_base_b,"axG",@progbits,_ZN9rocsparseL18bsrxmvn_5x5_kernelILj50EdiidddEEvT2_20rocsparse_direction_NS_24const_host_device_scalarIT0_EES1_PKS1_PKT1_SA_S7_PKT3_PKT4_S5_PT5_21rocsparse_index_base_b,comdat
.Lfunc_end3:
	.size	_ZN9rocsparseL18bsrxmvn_5x5_kernelILj50EdiidddEEvT2_20rocsparse_direction_NS_24const_host_device_scalarIT0_EES1_PKS1_PKT1_SA_S7_PKT3_PKT4_S5_PT5_21rocsparse_index_base_b, .Lfunc_end3-_ZN9rocsparseL18bsrxmvn_5x5_kernelILj50EdiidddEEvT2_20rocsparse_direction_NS_24const_host_device_scalarIT0_EES1_PKS1_PKT1_SA_S7_PKT3_PKT4_S5_PT5_21rocsparse_index_base_b
                                        ; -- End function
	.set _ZN9rocsparseL18bsrxmvn_5x5_kernelILj50EdiidddEEvT2_20rocsparse_direction_NS_24const_host_device_scalarIT0_EES1_PKS1_PKT1_SA_S7_PKT3_PKT4_S5_PT5_21rocsparse_index_base_b.num_vgpr, 17
	.set _ZN9rocsparseL18bsrxmvn_5x5_kernelILj50EdiidddEEvT2_20rocsparse_direction_NS_24const_host_device_scalarIT0_EES1_PKS1_PKT1_SA_S7_PKT3_PKT4_S5_PT5_21rocsparse_index_base_b.num_agpr, 0
	.set _ZN9rocsparseL18bsrxmvn_5x5_kernelILj50EdiidddEEvT2_20rocsparse_direction_NS_24const_host_device_scalarIT0_EES1_PKS1_PKT1_SA_S7_PKT3_PKT4_S5_PT5_21rocsparse_index_base_b.numbered_sgpr, 14
	.set _ZN9rocsparseL18bsrxmvn_5x5_kernelILj50EdiidddEEvT2_20rocsparse_direction_NS_24const_host_device_scalarIT0_EES1_PKS1_PKT1_SA_S7_PKT3_PKT4_S5_PT5_21rocsparse_index_base_b.num_named_barrier, 0
	.set _ZN9rocsparseL18bsrxmvn_5x5_kernelILj50EdiidddEEvT2_20rocsparse_direction_NS_24const_host_device_scalarIT0_EES1_PKS1_PKT1_SA_S7_PKT3_PKT4_S5_PT5_21rocsparse_index_base_b.private_seg_size, 0
	.set _ZN9rocsparseL18bsrxmvn_5x5_kernelILj50EdiidddEEvT2_20rocsparse_direction_NS_24const_host_device_scalarIT0_EES1_PKS1_PKT1_SA_S7_PKT3_PKT4_S5_PT5_21rocsparse_index_base_b.uses_vcc, 1
	.set _ZN9rocsparseL18bsrxmvn_5x5_kernelILj50EdiidddEEvT2_20rocsparse_direction_NS_24const_host_device_scalarIT0_EES1_PKS1_PKT1_SA_S7_PKT3_PKT4_S5_PT5_21rocsparse_index_base_b.uses_flat_scratch, 0
	.set _ZN9rocsparseL18bsrxmvn_5x5_kernelILj50EdiidddEEvT2_20rocsparse_direction_NS_24const_host_device_scalarIT0_EES1_PKS1_PKT1_SA_S7_PKT3_PKT4_S5_PT5_21rocsparse_index_base_b.has_dyn_sized_stack, 0
	.set _ZN9rocsparseL18bsrxmvn_5x5_kernelILj50EdiidddEEvT2_20rocsparse_direction_NS_24const_host_device_scalarIT0_EES1_PKS1_PKT1_SA_S7_PKT3_PKT4_S5_PT5_21rocsparse_index_base_b.has_recursion, 0
	.set _ZN9rocsparseL18bsrxmvn_5x5_kernelILj50EdiidddEEvT2_20rocsparse_direction_NS_24const_host_device_scalarIT0_EES1_PKS1_PKT1_SA_S7_PKT3_PKT4_S5_PT5_21rocsparse_index_base_b.has_indirect_call, 0
	.section	.AMDGPU.csdata,"",@progbits
; Kernel info:
; codeLenInByte = 1324
; TotalNumSgprs: 16
; NumVgprs: 17
; ScratchSize: 0
; MemoryBound: 0
; FloatMode: 240
; IeeeMode: 1
; LDSByteSize: 400 bytes/workgroup (compile time only)
; SGPRBlocks: 0
; VGPRBlocks: 2
; NumSGPRsForWavesPerEU: 16
; NumVGPRsForWavesPerEU: 17
; Occupancy: 16
; WaveLimiterHint : 1
; COMPUTE_PGM_RSRC2:SCRATCH_EN: 0
; COMPUTE_PGM_RSRC2:USER_SGPR: 6
; COMPUTE_PGM_RSRC2:TRAP_HANDLER: 0
; COMPUTE_PGM_RSRC2:TGID_X_EN: 1
; COMPUTE_PGM_RSRC2:TGID_Y_EN: 0
; COMPUTE_PGM_RSRC2:TGID_Z_EN: 0
; COMPUTE_PGM_RSRC2:TIDIG_COMP_CNT: 0
	.section	.text._ZN9rocsparseL18bsrxmvn_5x5_kernelILj50E21rocsparse_complex_numIfEiiS2_S2_S2_EEvT2_20rocsparse_direction_NS_24const_host_device_scalarIT0_EES3_PKS3_PKT1_SC_S9_PKT3_PKT4_S7_PT5_21rocsparse_index_base_b,"axG",@progbits,_ZN9rocsparseL18bsrxmvn_5x5_kernelILj50E21rocsparse_complex_numIfEiiS2_S2_S2_EEvT2_20rocsparse_direction_NS_24const_host_device_scalarIT0_EES3_PKS3_PKT1_SC_S9_PKT3_PKT4_S7_PT5_21rocsparse_index_base_b,comdat
	.globl	_ZN9rocsparseL18bsrxmvn_5x5_kernelILj50E21rocsparse_complex_numIfEiiS2_S2_S2_EEvT2_20rocsparse_direction_NS_24const_host_device_scalarIT0_EES3_PKS3_PKT1_SC_S9_PKT3_PKT4_S7_PT5_21rocsparse_index_base_b ; -- Begin function _ZN9rocsparseL18bsrxmvn_5x5_kernelILj50E21rocsparse_complex_numIfEiiS2_S2_S2_EEvT2_20rocsparse_direction_NS_24const_host_device_scalarIT0_EES3_PKS3_PKT1_SC_S9_PKT3_PKT4_S7_PT5_21rocsparse_index_base_b
	.p2align	8
	.type	_ZN9rocsparseL18bsrxmvn_5x5_kernelILj50E21rocsparse_complex_numIfEiiS2_S2_S2_EEvT2_20rocsparse_direction_NS_24const_host_device_scalarIT0_EES3_PKS3_PKT1_SC_S9_PKT3_PKT4_S7_PT5_21rocsparse_index_base_b,@function
_ZN9rocsparseL18bsrxmvn_5x5_kernelILj50E21rocsparse_complex_numIfEiiS2_S2_S2_EEvT2_20rocsparse_direction_NS_24const_host_device_scalarIT0_EES3_PKS3_PKT1_SC_S9_PKT3_PKT4_S7_PT5_21rocsparse_index_base_b: ; @_ZN9rocsparseL18bsrxmvn_5x5_kernelILj50E21rocsparse_complex_numIfEiiS2_S2_S2_EEvT2_20rocsparse_direction_NS_24const_host_device_scalarIT0_EES3_PKS3_PKT1_SC_S9_PKT3_PKT4_S7_PT5_21rocsparse_index_base_b
; %bb.0:
	s_clause 0x2
	s_load_dwordx2 s[10:11], s[4:5], 0x58
	s_load_dwordx2 s[0:1], s[4:5], 0x8
	;; [unrolled: 1-line block ×3, first 2 shown]
	s_add_u32 s7, s4, 8
	s_addc_u32 s8, s5, 0
	s_add_u32 s9, s4, 0x48
	s_addc_u32 s12, s5, 0
	s_waitcnt lgkmcnt(0)
	s_bitcmp1_b32 s11, 0
	s_cselect_b32 s0, s7, s0
	s_cselect_b32 s1, s8, s1
	v_mov_b32_e32 v1, s0
	v_mov_b32_e32 v2, s1
	s_cselect_b32 s0, s9, s2
	s_cselect_b32 s1, s12, s3
	flat_load_dwordx2 v[3:4], v[1:2]
	v_mov_b32_e32 v1, s0
	v_mov_b32_e32 v2, s1
	flat_load_dwordx2 v[1:2], v[1:2]
	s_waitcnt vmcnt(1) lgkmcnt(1)
	v_cmp_eq_f32_e32 vcc_lo, 0, v3
	v_cmp_eq_f32_e64 s0, 0, v4
	s_and_b32 s2, vcc_lo, s0
	s_mov_b32 s0, -1
	s_and_saveexec_b32 s1, s2
	s_cbranch_execz .LBB4_2
; %bb.1:
	s_waitcnt vmcnt(0) lgkmcnt(0)
	v_cmp_neq_f32_e32 vcc_lo, 1.0, v1
	v_cmp_neq_f32_e64 s0, 0, v2
	s_or_b32 s0, vcc_lo, s0
	s_orn2_b32 s0, s0, exec_lo
.LBB4_2:
	s_or_b32 exec_lo, exec_lo, s1
	s_and_saveexec_b32 s1, s0
	s_cbranch_execz .LBB4_35
; %bb.3:
	s_clause 0x1
	s_load_dwordx4 s[0:3], s[4:5], 0x18
	s_load_dwordx2 s[8:9], s[4:5], 0x28
	s_waitcnt lgkmcnt(0)
	s_cmp_eq_u64 s[0:1], 0
	s_cbranch_scc1 .LBB4_5
; %bb.4:
	s_ashr_i32 s7, s6, 31
	s_lshl_b64 s[6:7], s[6:7], 2
	s_add_u32 s0, s0, s6
	s_addc_u32 s1, s1, s7
	s_load_dword s0, s[0:1], 0x0
	s_waitcnt lgkmcnt(0)
	s_sub_i32 s6, s0, s10
.LBB4_5:
	s_load_dword s0, s[4:5], 0x4
	v_mul_u32_u24_e32 v5, 0x3334, v0
	v_mov_b32_e32 v6, 0
	v_lshrrev_b32_e32 v7, 16, v5
	v_mul_lo_u16 v5, v7, 5
	v_sub_nc_u16 v12, v0, v5
	v_mov_b32_e32 v5, 0
	s_waitcnt lgkmcnt(0)
	s_cmp_eq_u32 s0, 1
	s_cselect_b32 vcc_lo, -1, 0
	s_cmp_lg_u32 s0, 1
	s_cselect_b32 s11, -1, 0
	s_ashr_i32 s7, s6, 31
	s_lshl_b64 s[0:1], s[6:7], 2
	s_add_u32 s2, s2, s0
	s_addc_u32 s3, s3, s1
	s_add_u32 s7, s2, 4
	s_addc_u32 s12, s3, 0
	;; [unrolled: 2-line block ×3, first 2 shown]
	s_cmp_eq_u64 s[8:9], 0
	s_load_dwordx2 s[8:9], s[4:5], 0x50
	s_cselect_b32 s1, s12, s1
	s_cselect_b32 s0, s7, s0
	s_load_dword s12, s[2:3], 0x0
	s_load_dword s7, s[0:1], 0x0
	s_waitcnt lgkmcnt(0)
	s_cmp_ge_i32 s12, s7
	s_cbranch_scc1 .LBB4_10
; %bb.6:
	v_mul_lo_u16 v5, v7, 52
	s_clause 0x1
	s_load_dwordx4 s[0:3], s[4:5], 0x30
	s_load_dwordx2 s[4:5], s[4:5], 0x40
	v_mov_b32_e32 v8, 0
	v_and_b32_e32 v9, 0xffff, v12
	s_mul_i32 s13, s10, 25
	v_lshrrev_b16 v5, 8, v5
	s_sub_i32 s7, s7, s10
	v_mul_lo_u16 v5, v5, 5
	v_sub_nc_u16 v7, v7, v5
	s_waitcnt vmcnt(0)
	v_mad_u64_u32 v[5:6], null, s12, 25, v[0:1]
	v_mov_b32_e32 v6, 0xa3e
	s_sub_i32 s12, s12, s10
	v_and_b32_e32 v10, 0xff, v7
	v_mul_u32_u24_sdwa v13, v0, v6 dst_sel:DWORD dst_unused:UNUSED_PAD src0_sel:WORD_0 src1_sel:DWORD
	v_mov_b32_e32 v6, v8
	v_subrev_nc_u32_e32 v7, s13, v5
	v_cndmask_b32_e32 v9, v9, v10, vcc_lo
	v_mov_b32_e32 v5, v8
	s_inst_prefetch 0x1
	s_branch .LBB4_8
	.p2align	6
.LBB4_7:                                ;   in Loop: Header=BB4_8 Depth=1
	s_or_b32 exec_lo, exec_lo, s13
	v_add_nc_u32_e32 v7, 50, v7
	s_add_i32 s12, s12, 2
	s_cmp_ge_i32 s12, s7
	s_cbranch_scc1 .LBB4_10
.LBB4_8:                                ; =>This Inner Loop Header: Depth=1
	v_add_nc_u32_sdwa v10, v13, s12 dst_sel:DWORD dst_unused:UNUSED_PAD src0_sel:WORD_1 src1_sel:DWORD
	s_mov_b32 s13, exec_lo
	v_cmpx_gt_i32_e64 s7, v10
	s_cbranch_execz .LBB4_7
; %bb.9:                                ;   in Loop: Header=BB4_8 Depth=1
	v_ashrrev_i32_e32 v11, 31, v10
	v_lshlrev_b64 v[14:15], 3, v[7:8]
	v_lshlrev_b64 v[10:11], 2, v[10:11]
	s_waitcnt lgkmcnt(0)
	v_add_co_u32 v10, vcc_lo, s0, v10
	v_add_co_ci_u32_e64 v11, null, s1, v11, vcc_lo
	v_add_co_u32 v14, vcc_lo, s2, v14
	v_add_co_ci_u32_e64 v15, null, s3, v15, vcc_lo
	global_load_dword v10, v[10:11], off
	s_waitcnt vmcnt(0)
	v_subrev_nc_u32_e32 v10, s10, v10
	v_mad_u64_u32 v[10:11], null, v10, 5, v[9:10]
	v_ashrrev_i32_e32 v11, 31, v10
	v_lshlrev_b64 v[10:11], 3, v[10:11]
	v_add_co_u32 v10, vcc_lo, s4, v10
	v_add_co_ci_u32_e64 v11, null, s5, v11, vcc_lo
	global_load_dwordx2 v[14:15], v[14:15], off
	global_load_dwordx2 v[10:11], v[10:11], off
	s_waitcnt vmcnt(0)
	v_fmac_f32_e32 v5, v14, v10
	v_fmac_f32_e32 v6, v15, v10
	v_fma_f32 v5, -v15, v11, v5
	v_fmac_f32_e32 v6, v14, v11
	s_branch .LBB4_7
.LBB4_10:
	s_inst_prefetch 0x2
	v_lshlrev_b32_e32 v7, 3, v0
	s_and_b32 vcc_lo, exec_lo, s11
	ds_write_b64 v7, v[5:6]
	s_waitcnt vmcnt(0) lgkmcnt(0)
	buffer_gl0_inv
	s_cbranch_vccz .LBB4_20
; %bb.11:
	s_mov_b32 s0, exec_lo
	v_cmpx_gt_u32_e32 25, v0
	s_cbranch_execz .LBB4_13
; %bb.12:
	ds_read2_b64 v[8:11], v7 offset1:25
	s_waitcnt lgkmcnt(0)
	v_add_f32_e32 v8, v10, v8
	v_add_f32_e32 v9, v11, v9
	ds_write_b64 v7, v[8:9]
.LBB4_13:
	s_or_b32 exec_lo, exec_lo, s0
	s_mov_b32 s0, exec_lo
	s_waitcnt lgkmcnt(0)
	buffer_gl0_inv
	v_cmpx_eq_u16_e32 0, v12
	s_cbranch_execz .LBB4_15
; %bb.14:
	ds_read2_b64 v[8:11], v7 offset1:4
	s_waitcnt lgkmcnt(0)
	v_add_f32_e32 v8, v10, v8
	v_add_f32_e32 v9, v11, v9
	ds_write_b64 v7, v[8:9]
.LBB4_15:
	s_or_b32 exec_lo, exec_lo, s0
	s_mov_b32 s0, exec_lo
	s_waitcnt lgkmcnt(0)
	buffer_gl0_inv
	v_cmpx_gt_u16_e32 2, v12
	s_cbranch_execz .LBB4_17
; %bb.16:
	ds_read2_b64 v[8:11], v7 offset1:2
	s_waitcnt lgkmcnt(0)
	v_add_f32_e32 v8, v10, v8
	v_add_f32_e32 v9, v11, v9
	ds_write_b64 v7, v[8:9]
.LBB4_17:
	s_or_b32 exec_lo, exec_lo, s0
	v_mov_b32_e32 v9, v6
	v_mov_b32_e32 v8, v5
	s_mov_b32 s0, exec_lo
	s_waitcnt lgkmcnt(0)
	buffer_gl0_inv
	v_cmpx_gt_u32_e32 5, v0
	s_cbranch_execz .LBB4_19
; %bb.18:
	v_lshl_add_u32 v8, v0, 5, v7
	ds_read2_b64 v[8:11], v8 offset1:1
	s_waitcnt lgkmcnt(0)
	v_add_f32_e32 v8, v10, v8
	v_add_f32_e32 v9, v11, v9
.LBB4_19:
	s_or_b32 exec_lo, exec_lo, s0
	s_branch .LBB4_30
.LBB4_20:
                                        ; implicit-def: $vgpr9
                                        ; implicit-def: $vgpr8
	s_cbranch_execz .LBB4_30
; %bb.21:
	v_cmp_gt_u32_e32 vcc_lo, 10, v0
	s_and_saveexec_b32 s0, vcc_lo
	s_cbranch_execz .LBB4_23
; %bb.22:
	ds_read2_b64 v[8:11], v7 offset1:40
	s_waitcnt lgkmcnt(0)
	v_add_f32_e32 v8, v10, v8
	v_add_f32_e32 v9, v11, v9
	ds_write_b64 v7, v[8:9]
.LBB4_23:
	s_or_b32 exec_lo, exec_lo, s0
	s_mov_b32 s1, exec_lo
	s_waitcnt lgkmcnt(0)
	buffer_gl0_inv
	v_cmpx_gt_u32_e32 20, v0
	s_cbranch_execz .LBB4_25
; %bb.24:
	ds_read2_b64 v[8:11], v7 offset1:20
	s_waitcnt lgkmcnt(0)
	v_add_f32_e32 v8, v10, v8
	v_add_f32_e32 v9, v11, v9
	ds_write_b64 v7, v[8:9]
.LBB4_25:
	s_or_b32 exec_lo, exec_lo, s1
	s_waitcnt lgkmcnt(0)
	buffer_gl0_inv
	s_and_saveexec_b32 s0, vcc_lo
	s_cbranch_execz .LBB4_27
; %bb.26:
	ds_read2_b64 v[8:11], v7 offset1:10
	s_waitcnt lgkmcnt(0)
	v_add_f32_e32 v8, v10, v8
	v_add_f32_e32 v9, v11, v9
	ds_write_b64 v7, v[8:9]
.LBB4_27:
	s_or_b32 exec_lo, exec_lo, s0
	s_mov_b32 s0, exec_lo
	s_waitcnt lgkmcnt(0)
	buffer_gl0_inv
	v_cmpx_gt_u32_e32 5, v0
	s_cbranch_execz .LBB4_29
; %bb.28:
	ds_read2_b64 v[5:8], v7 offset1:5
	s_waitcnt lgkmcnt(0)
	v_add_f32_e32 v5, v7, v5
	v_add_f32_e32 v6, v8, v6
.LBB4_29:
	s_or_b32 exec_lo, exec_lo, s0
	v_mov_b32_e32 v9, v6
	v_mov_b32_e32 v8, v5
.LBB4_30:
	v_cmp_gt_u32_e32 vcc_lo, 5, v0
	s_and_b32 exec_lo, exec_lo, vcc_lo
	s_cbranch_execz .LBB4_35
; %bb.31:
	v_mul_f32_e64 v5, v9, -v4
	v_mul_f32_e32 v6, v3, v9
	v_cmp_eq_f32_e32 vcc_lo, 0, v1
	v_cmp_eq_f32_e64 s0, 0, v2
	v_fmac_f32_e32 v5, v3, v8
	v_fmac_f32_e32 v6, v4, v8
	s_and_b32 s0, vcc_lo, s0
	s_and_saveexec_b32 s1, s0
	s_xor_b32 s0, exec_lo, s1
	s_cbranch_execz .LBB4_33
; %bb.32:
	v_mad_u64_u32 v[0:1], null, s6, 5, v[0:1]
	v_mov_b32_e32 v1, 0
	v_lshlrev_b64 v[0:1], 3, v[0:1]
	v_add_co_u32 v0, vcc_lo, s8, v0
	v_add_co_ci_u32_e64 v1, null, s9, v1, vcc_lo
	global_store_dwordx2 v[0:1], v[5:6], off
                                        ; implicit-def: $vgpr0
                                        ; implicit-def: $vgpr1_vgpr2
                                        ; implicit-def: $vgpr5
.LBB4_33:
	s_andn2_saveexec_b32 s0, s0
	s_cbranch_execz .LBB4_35
; %bb.34:
	v_mad_u64_u32 v[3:4], null, s6, 5, v[0:1]
	v_mov_b32_e32 v4, 0
	v_lshlrev_b64 v[3:4], 3, v[3:4]
	v_add_co_u32 v3, vcc_lo, s8, v3
	v_add_co_ci_u32_e64 v4, null, s9, v4, vcc_lo
	global_load_dwordx2 v[7:8], v[3:4], off
	s_waitcnt vmcnt(0)
	v_fmac_f32_e32 v5, v1, v7
	v_fmac_f32_e32 v6, v2, v7
	v_fma_f32 v5, -v2, v8, v5
	v_fmac_f32_e32 v6, v1, v8
	global_store_dwordx2 v[3:4], v[5:6], off
.LBB4_35:
	s_endpgm
	.section	.rodata,"a",@progbits
	.p2align	6, 0x0
	.amdhsa_kernel _ZN9rocsparseL18bsrxmvn_5x5_kernelILj50E21rocsparse_complex_numIfEiiS2_S2_S2_EEvT2_20rocsparse_direction_NS_24const_host_device_scalarIT0_EES3_PKS3_PKT1_SC_S9_PKT3_PKT4_S7_PT5_21rocsparse_index_base_b
		.amdhsa_group_segment_fixed_size 400
		.amdhsa_private_segment_fixed_size 0
		.amdhsa_kernarg_size 96
		.amdhsa_user_sgpr_count 6
		.amdhsa_user_sgpr_private_segment_buffer 1
		.amdhsa_user_sgpr_dispatch_ptr 0
		.amdhsa_user_sgpr_queue_ptr 0
		.amdhsa_user_sgpr_kernarg_segment_ptr 1
		.amdhsa_user_sgpr_dispatch_id 0
		.amdhsa_user_sgpr_flat_scratch_init 0
		.amdhsa_user_sgpr_private_segment_size 0
		.amdhsa_wavefront_size32 1
		.amdhsa_uses_dynamic_stack 0
		.amdhsa_system_sgpr_private_segment_wavefront_offset 0
		.amdhsa_system_sgpr_workgroup_id_x 1
		.amdhsa_system_sgpr_workgroup_id_y 0
		.amdhsa_system_sgpr_workgroup_id_z 0
		.amdhsa_system_sgpr_workgroup_info 0
		.amdhsa_system_vgpr_workitem_id 0
		.amdhsa_next_free_vgpr 16
		.amdhsa_next_free_sgpr 14
		.amdhsa_reserve_vcc 1
		.amdhsa_reserve_flat_scratch 0
		.amdhsa_float_round_mode_32 0
		.amdhsa_float_round_mode_16_64 0
		.amdhsa_float_denorm_mode_32 3
		.amdhsa_float_denorm_mode_16_64 3
		.amdhsa_dx10_clamp 1
		.amdhsa_ieee_mode 1
		.amdhsa_fp16_overflow 0
		.amdhsa_workgroup_processor_mode 1
		.amdhsa_memory_ordered 1
		.amdhsa_forward_progress 1
		.amdhsa_shared_vgpr_count 0
		.amdhsa_exception_fp_ieee_invalid_op 0
		.amdhsa_exception_fp_denorm_src 0
		.amdhsa_exception_fp_ieee_div_zero 0
		.amdhsa_exception_fp_ieee_overflow 0
		.amdhsa_exception_fp_ieee_underflow 0
		.amdhsa_exception_fp_ieee_inexact 0
		.amdhsa_exception_int_div_zero 0
	.end_amdhsa_kernel
	.section	.text._ZN9rocsparseL18bsrxmvn_5x5_kernelILj50E21rocsparse_complex_numIfEiiS2_S2_S2_EEvT2_20rocsparse_direction_NS_24const_host_device_scalarIT0_EES3_PKS3_PKT1_SC_S9_PKT3_PKT4_S7_PT5_21rocsparse_index_base_b,"axG",@progbits,_ZN9rocsparseL18bsrxmvn_5x5_kernelILj50E21rocsparse_complex_numIfEiiS2_S2_S2_EEvT2_20rocsparse_direction_NS_24const_host_device_scalarIT0_EES3_PKS3_PKT1_SC_S9_PKT3_PKT4_S7_PT5_21rocsparse_index_base_b,comdat
.Lfunc_end4:
	.size	_ZN9rocsparseL18bsrxmvn_5x5_kernelILj50E21rocsparse_complex_numIfEiiS2_S2_S2_EEvT2_20rocsparse_direction_NS_24const_host_device_scalarIT0_EES3_PKS3_PKT1_SC_S9_PKT3_PKT4_S7_PT5_21rocsparse_index_base_b, .Lfunc_end4-_ZN9rocsparseL18bsrxmvn_5x5_kernelILj50E21rocsparse_complex_numIfEiiS2_S2_S2_EEvT2_20rocsparse_direction_NS_24const_host_device_scalarIT0_EES3_PKS3_PKT1_SC_S9_PKT3_PKT4_S7_PT5_21rocsparse_index_base_b
                                        ; -- End function
	.set _ZN9rocsparseL18bsrxmvn_5x5_kernelILj50E21rocsparse_complex_numIfEiiS2_S2_S2_EEvT2_20rocsparse_direction_NS_24const_host_device_scalarIT0_EES3_PKS3_PKT1_SC_S9_PKT3_PKT4_S7_PT5_21rocsparse_index_base_b.num_vgpr, 16
	.set _ZN9rocsparseL18bsrxmvn_5x5_kernelILj50E21rocsparse_complex_numIfEiiS2_S2_S2_EEvT2_20rocsparse_direction_NS_24const_host_device_scalarIT0_EES3_PKS3_PKT1_SC_S9_PKT3_PKT4_S7_PT5_21rocsparse_index_base_b.num_agpr, 0
	.set _ZN9rocsparseL18bsrxmvn_5x5_kernelILj50E21rocsparse_complex_numIfEiiS2_S2_S2_EEvT2_20rocsparse_direction_NS_24const_host_device_scalarIT0_EES3_PKS3_PKT1_SC_S9_PKT3_PKT4_S7_PT5_21rocsparse_index_base_b.numbered_sgpr, 14
	.set _ZN9rocsparseL18bsrxmvn_5x5_kernelILj50E21rocsparse_complex_numIfEiiS2_S2_S2_EEvT2_20rocsparse_direction_NS_24const_host_device_scalarIT0_EES3_PKS3_PKT1_SC_S9_PKT3_PKT4_S7_PT5_21rocsparse_index_base_b.num_named_barrier, 0
	.set _ZN9rocsparseL18bsrxmvn_5x5_kernelILj50E21rocsparse_complex_numIfEiiS2_S2_S2_EEvT2_20rocsparse_direction_NS_24const_host_device_scalarIT0_EES3_PKS3_PKT1_SC_S9_PKT3_PKT4_S7_PT5_21rocsparse_index_base_b.private_seg_size, 0
	.set _ZN9rocsparseL18bsrxmvn_5x5_kernelILj50E21rocsparse_complex_numIfEiiS2_S2_S2_EEvT2_20rocsparse_direction_NS_24const_host_device_scalarIT0_EES3_PKS3_PKT1_SC_S9_PKT3_PKT4_S7_PT5_21rocsparse_index_base_b.uses_vcc, 1
	.set _ZN9rocsparseL18bsrxmvn_5x5_kernelILj50E21rocsparse_complex_numIfEiiS2_S2_S2_EEvT2_20rocsparse_direction_NS_24const_host_device_scalarIT0_EES3_PKS3_PKT1_SC_S9_PKT3_PKT4_S7_PT5_21rocsparse_index_base_b.uses_flat_scratch, 0
	.set _ZN9rocsparseL18bsrxmvn_5x5_kernelILj50E21rocsparse_complex_numIfEiiS2_S2_S2_EEvT2_20rocsparse_direction_NS_24const_host_device_scalarIT0_EES3_PKS3_PKT1_SC_S9_PKT3_PKT4_S7_PT5_21rocsparse_index_base_b.has_dyn_sized_stack, 0
	.set _ZN9rocsparseL18bsrxmvn_5x5_kernelILj50E21rocsparse_complex_numIfEiiS2_S2_S2_EEvT2_20rocsparse_direction_NS_24const_host_device_scalarIT0_EES3_PKS3_PKT1_SC_S9_PKT3_PKT4_S7_PT5_21rocsparse_index_base_b.has_recursion, 0
	.set _ZN9rocsparseL18bsrxmvn_5x5_kernelILj50E21rocsparse_complex_numIfEiiS2_S2_S2_EEvT2_20rocsparse_direction_NS_24const_host_device_scalarIT0_EES3_PKS3_PKT1_SC_S9_PKT3_PKT4_S7_PT5_21rocsparse_index_base_b.has_indirect_call, 0
	.section	.AMDGPU.csdata,"",@progbits
; Kernel info:
; codeLenInByte = 1436
; TotalNumSgprs: 16
; NumVgprs: 16
; ScratchSize: 0
; MemoryBound: 0
; FloatMode: 240
; IeeeMode: 1
; LDSByteSize: 400 bytes/workgroup (compile time only)
; SGPRBlocks: 0
; VGPRBlocks: 1
; NumSGPRsForWavesPerEU: 16
; NumVGPRsForWavesPerEU: 16
; Occupancy: 16
; WaveLimiterHint : 1
; COMPUTE_PGM_RSRC2:SCRATCH_EN: 0
; COMPUTE_PGM_RSRC2:USER_SGPR: 6
; COMPUTE_PGM_RSRC2:TRAP_HANDLER: 0
; COMPUTE_PGM_RSRC2:TGID_X_EN: 1
; COMPUTE_PGM_RSRC2:TGID_Y_EN: 0
; COMPUTE_PGM_RSRC2:TGID_Z_EN: 0
; COMPUTE_PGM_RSRC2:TIDIG_COMP_CNT: 0
	.section	.text._ZN9rocsparseL18bsrxmvn_5x5_kernelILj50E21rocsparse_complex_numIdEiiS2_S2_S2_EEvT2_20rocsparse_direction_NS_24const_host_device_scalarIT0_EES3_PKS3_PKT1_SC_S9_PKT3_PKT4_S7_PT5_21rocsparse_index_base_b,"axG",@progbits,_ZN9rocsparseL18bsrxmvn_5x5_kernelILj50E21rocsparse_complex_numIdEiiS2_S2_S2_EEvT2_20rocsparse_direction_NS_24const_host_device_scalarIT0_EES3_PKS3_PKT1_SC_S9_PKT3_PKT4_S7_PT5_21rocsparse_index_base_b,comdat
	.globl	_ZN9rocsparseL18bsrxmvn_5x5_kernelILj50E21rocsparse_complex_numIdEiiS2_S2_S2_EEvT2_20rocsparse_direction_NS_24const_host_device_scalarIT0_EES3_PKS3_PKT1_SC_S9_PKT3_PKT4_S7_PT5_21rocsparse_index_base_b ; -- Begin function _ZN9rocsparseL18bsrxmvn_5x5_kernelILj50E21rocsparse_complex_numIdEiiS2_S2_S2_EEvT2_20rocsparse_direction_NS_24const_host_device_scalarIT0_EES3_PKS3_PKT1_SC_S9_PKT3_PKT4_S7_PT5_21rocsparse_index_base_b
	.p2align	8
	.type	_ZN9rocsparseL18bsrxmvn_5x5_kernelILj50E21rocsparse_complex_numIdEiiS2_S2_S2_EEvT2_20rocsparse_direction_NS_24const_host_device_scalarIT0_EES3_PKS3_PKT1_SC_S9_PKT3_PKT4_S7_PT5_21rocsparse_index_base_b,@function
_ZN9rocsparseL18bsrxmvn_5x5_kernelILj50E21rocsparse_complex_numIdEiiS2_S2_S2_EEvT2_20rocsparse_direction_NS_24const_host_device_scalarIT0_EES3_PKS3_PKT1_SC_S9_PKT3_PKT4_S7_PT5_21rocsparse_index_base_b: ; @_ZN9rocsparseL18bsrxmvn_5x5_kernelILj50E21rocsparse_complex_numIdEiiS2_S2_S2_EEvT2_20rocsparse_direction_NS_24const_host_device_scalarIT0_EES3_PKS3_PKT1_SC_S9_PKT3_PKT4_S7_PT5_21rocsparse_index_base_b
; %bb.0:
	s_clause 0x1
	s_load_dwordx2 s[10:11], s[4:5], 0x68
	s_load_dwordx2 s[0:1], s[4:5], 0x8
	s_add_u32 s7, s4, 8
	s_addc_u32 s8, s5, 0
	s_add_u32 s9, s4, 0x50
	s_addc_u32 s12, s5, 0
	s_load_dwordx2 s[2:3], s[4:5], 0x50
	s_waitcnt lgkmcnt(0)
	s_bitcmp1_b32 s11, 0
	s_cselect_b32 s0, s7, s0
	s_cselect_b32 s1, s8, s1
	v_mov_b32_e32 v1, s0
	v_mov_b32_e32 v2, s1
	s_cselect_b32 s0, s9, s2
	s_cselect_b32 s1, s12, s3
	flat_load_dwordx4 v[5:8], v[1:2]
	v_mov_b32_e32 v1, s0
	v_mov_b32_e32 v2, s1
	flat_load_dwordx4 v[1:4], v[1:2]
	s_waitcnt vmcnt(1) lgkmcnt(1)
	v_cmp_eq_f64_e32 vcc_lo, 0, v[5:6]
	v_cmp_eq_f64_e64 s0, 0, v[7:8]
	s_and_b32 s2, vcc_lo, s0
	s_mov_b32 s0, -1
	s_and_saveexec_b32 s1, s2
	s_cbranch_execz .LBB5_2
; %bb.1:
	s_waitcnt vmcnt(0) lgkmcnt(0)
	v_cmp_neq_f64_e32 vcc_lo, 1.0, v[1:2]
	v_cmp_neq_f64_e64 s0, 0, v[3:4]
	s_or_b32 s0, vcc_lo, s0
	s_orn2_b32 s0, s0, exec_lo
.LBB5_2:
	s_or_b32 exec_lo, exec_lo, s1
	s_and_saveexec_b32 s1, s0
	s_cbranch_execz .LBB5_35
; %bb.3:
	s_clause 0x1
	s_load_dwordx4 s[0:3], s[4:5], 0x20
	s_load_dwordx2 s[8:9], s[4:5], 0x30
	s_waitcnt lgkmcnt(0)
	s_cmp_eq_u64 s[0:1], 0
	s_cbranch_scc1 .LBB5_5
; %bb.4:
	s_ashr_i32 s7, s6, 31
	s_lshl_b64 s[6:7], s[6:7], 2
	s_add_u32 s0, s0, s6
	s_addc_u32 s1, s1, s7
	s_load_dword s0, s[0:1], 0x0
	s_waitcnt lgkmcnt(0)
	s_sub_i32 s6, s0, s10
.LBB5_5:
	s_load_dword s0, s[4:5], 0x4
	v_mul_u32_u24_e32 v9, 0x3334, v0
	v_mov_b32_e32 v11, 0
	v_mov_b32_e32 v12, 0
	v_lshrrev_b32_e32 v13, 16, v9
	v_mov_b32_e32 v9, 0
	v_mov_b32_e32 v10, 0
	v_mul_lo_u16 v14, v13, 5
	v_sub_nc_u16 v18, v0, v14
	s_waitcnt lgkmcnt(0)
	s_cmp_eq_u32 s0, 1
	s_cselect_b32 vcc_lo, -1, 0
	s_cmp_lg_u32 s0, 1
	s_cselect_b32 s11, -1, 0
	s_ashr_i32 s7, s6, 31
	s_lshl_b64 s[0:1], s[6:7], 2
	s_add_u32 s2, s2, s0
	s_addc_u32 s3, s3, s1
	s_add_u32 s7, s2, 4
	s_addc_u32 s12, s3, 0
	;; [unrolled: 2-line block ×3, first 2 shown]
	s_cmp_eq_u64 s[8:9], 0
	s_cselect_b32 s1, s12, s1
	s_cselect_b32 s0, s7, s0
	s_load_dword s7, s[2:3], 0x0
	s_load_dword s14, s[0:1], 0x0
	s_load_dwordx2 s[8:9], s[4:5], 0x60
	s_waitcnt lgkmcnt(0)
	s_cmp_ge_i32 s7, s14
	s_cbranch_scc1 .LBB5_10
; %bb.6:
	v_mul_lo_u16 v9, v13, 52
	s_clause 0x1
	s_load_dwordx2 s[12:13], s[4:5], 0x48
	s_load_dwordx4 s[0:3], s[4:5], 0x38
	v_mov_b32_e32 v15, 0xa3e
	v_mov_b32_e32 v11, 0
	;; [unrolled: 1-line block ×3, first 2 shown]
	v_lshrrev_b16 v9, 8, v9
	s_mul_i32 s4, s10, 25
	v_mul_u32_u24_sdwa v19, v0, v15 dst_sel:DWORD dst_unused:UNUSED_PAD src0_sel:WORD_0 src1_sel:DWORD
	v_mov_b32_e32 v14, 0
	s_sub_i32 s5, s7, s10
	v_mul_lo_u16 v9, v9, 5
	v_sub_nc_u16 v13, v13, v9
	s_waitcnt vmcnt(0)
	v_mad_u64_u32 v[9:10], null, s7, 25, v[0:1]
	v_and_b32_e32 v10, 0xffff, v18
	v_and_b32_e32 v16, 0xff, v13
	v_subrev_nc_u32_e32 v13, s4, v9
	v_cndmask_b32_e32 v15, v10, v16, vcc_lo
	v_mov_b32_e32 v9, v11
	v_mov_b32_e32 v10, v12
	s_sub_i32 s4, s14, s10
	s_branch .LBB5_8
.LBB5_7:                                ;   in Loop: Header=BB5_8 Depth=1
	s_or_b32 exec_lo, exec_lo, s7
	v_add_nc_u32_e32 v13, 50, v13
	s_add_i32 s5, s5, 2
	s_cmp_ge_i32 s5, s4
	s_cbranch_scc1 .LBB5_10
.LBB5_8:                                ; =>This Inner Loop Header: Depth=1
	v_add_nc_u32_sdwa v16, v19, s5 dst_sel:DWORD dst_unused:UNUSED_PAD src0_sel:WORD_1 src1_sel:DWORD
	s_mov_b32 s7, exec_lo
	v_cmpx_gt_i32_e64 s4, v16
	s_cbranch_execz .LBB5_7
; %bb.9:                                ;   in Loop: Header=BB5_8 Depth=1
	v_ashrrev_i32_e32 v17, 31, v16
	v_lshlrev_b64 v[20:21], 4, v[13:14]
	v_lshlrev_b64 v[16:17], 2, v[16:17]
	s_waitcnt lgkmcnt(0)
	v_add_co_u32 v16, vcc_lo, s0, v16
	v_add_co_ci_u32_e64 v17, null, s1, v17, vcc_lo
	v_add_co_u32 v20, vcc_lo, s2, v20
	v_add_co_ci_u32_e64 v21, null, s3, v21, vcc_lo
	global_load_dword v16, v[16:17], off
	s_waitcnt vmcnt(0)
	v_subrev_nc_u32_e32 v16, s10, v16
	v_mad_u64_u32 v[16:17], null, v16, 5, v[15:16]
	v_ashrrev_i32_e32 v17, 31, v16
	v_lshlrev_b64 v[16:17], 4, v[16:17]
	v_add_co_u32 v16, vcc_lo, s12, v16
	v_add_co_ci_u32_e64 v17, null, s13, v17, vcc_lo
	global_load_dwordx4 v[20:23], v[20:21], off
	global_load_dwordx4 v[24:27], v[16:17], off
	s_waitcnt vmcnt(0)
	v_fma_f64 v[9:10], v[20:21], v[24:25], v[9:10]
	v_fma_f64 v[11:12], v[22:23], v[24:25], v[11:12]
	v_fma_f64 v[9:10], -v[22:23], v[26:27], v[9:10]
	v_fma_f64 v[11:12], v[20:21], v[26:27], v[11:12]
	s_branch .LBB5_7
.LBB5_10:
	v_lshlrev_b32_e32 v17, 4, v0
	s_and_b32 vcc_lo, exec_lo, s11
	ds_write_b128 v17, v[9:12]
	s_waitcnt vmcnt(0) lgkmcnt(0)
	buffer_gl0_inv
	s_cbranch_vccz .LBB5_20
; %bb.11:
	s_mov_b32 s0, exec_lo
	v_cmpx_gt_u32_e32 25, v0
	s_cbranch_execz .LBB5_13
; %bb.12:
	ds_read_b128 v[13:16], v17 offset:400
	ds_read_b128 v[19:22], v17
	s_waitcnt lgkmcnt(0)
	v_add_f64 v[13:14], v[13:14], v[19:20]
	v_add_f64 v[15:16], v[15:16], v[21:22]
	ds_write_b128 v17, v[13:16]
.LBB5_13:
	s_or_b32 exec_lo, exec_lo, s0
	s_mov_b32 s0, exec_lo
	s_waitcnt lgkmcnt(0)
	buffer_gl0_inv
	v_cmpx_eq_u16_e32 0, v18
	s_cbranch_execz .LBB5_15
; %bb.14:
	ds_read_b128 v[13:16], v17 offset:64
	ds_read_b128 v[19:22], v17
	s_waitcnt lgkmcnt(0)
	v_add_f64 v[13:14], v[13:14], v[19:20]
	v_add_f64 v[15:16], v[15:16], v[21:22]
	ds_write_b128 v17, v[13:16]
.LBB5_15:
	s_or_b32 exec_lo, exec_lo, s0
	s_mov_b32 s0, exec_lo
	s_waitcnt lgkmcnt(0)
	buffer_gl0_inv
	v_cmpx_gt_u16_e32 2, v18
	s_cbranch_execz .LBB5_17
; %bb.16:
	ds_read_b128 v[13:16], v17
	ds_read_b128 v[18:21], v17 offset:32
	s_waitcnt lgkmcnt(0)
	v_add_f64 v[13:14], v[18:19], v[13:14]
	v_add_f64 v[15:16], v[20:21], v[15:16]
	ds_write_b128 v17, v[13:16]
.LBB5_17:
	s_or_b32 exec_lo, exec_lo, s0
	v_mov_b32_e32 v16, v12
	v_mov_b32_e32 v14, v10
	;; [unrolled: 1-line block ×4, first 2 shown]
	s_mov_b32 s0, exec_lo
	s_waitcnt lgkmcnt(0)
	buffer_gl0_inv
	v_cmpx_gt_u32_e32 5, v0
	s_cbranch_execz .LBB5_19
; %bb.18:
	v_lshl_add_u32 v18, v0, 6, v17
	ds_read_b128 v[13:16], v18
	ds_read_b128 v[18:21], v18 offset:16
	s_waitcnt lgkmcnt(0)
	v_add_f64 v[13:14], v[18:19], v[13:14]
	v_add_f64 v[15:16], v[20:21], v[15:16]
.LBB5_19:
	s_or_b32 exec_lo, exec_lo, s0
	s_branch .LBB5_30
.LBB5_20:
                                        ; implicit-def: $vgpr15_vgpr16
                                        ; implicit-def: $vgpr13_vgpr14
	s_cbranch_execz .LBB5_30
; %bb.21:
	v_cmp_gt_u32_e32 vcc_lo, 10, v0
	s_and_saveexec_b32 s0, vcc_lo
	s_cbranch_execz .LBB5_23
; %bb.22:
	ds_read_b128 v[13:16], v17 offset:640
	ds_read_b128 v[18:21], v17
	s_waitcnt lgkmcnt(0)
	v_add_f64 v[13:14], v[13:14], v[18:19]
	v_add_f64 v[15:16], v[15:16], v[20:21]
	ds_write_b128 v17, v[13:16]
.LBB5_23:
	s_or_b32 exec_lo, exec_lo, s0
	s_mov_b32 s1, exec_lo
	s_waitcnt lgkmcnt(0)
	buffer_gl0_inv
	v_cmpx_gt_u32_e32 20, v0
	s_cbranch_execz .LBB5_25
; %bb.24:
	ds_read_b128 v[13:16], v17 offset:320
	ds_read_b128 v[18:21], v17
	s_waitcnt lgkmcnt(0)
	v_add_f64 v[13:14], v[13:14], v[18:19]
	v_add_f64 v[15:16], v[15:16], v[20:21]
	ds_write_b128 v17, v[13:16]
.LBB5_25:
	s_or_b32 exec_lo, exec_lo, s1
	s_waitcnt lgkmcnt(0)
	buffer_gl0_inv
	s_and_saveexec_b32 s0, vcc_lo
	s_cbranch_execz .LBB5_27
; %bb.26:
	ds_read_b128 v[13:16], v17 offset:160
	ds_read_b128 v[18:21], v17
	s_waitcnt lgkmcnt(0)
	v_add_f64 v[13:14], v[13:14], v[18:19]
	v_add_f64 v[15:16], v[15:16], v[20:21]
	ds_write_b128 v17, v[13:16]
.LBB5_27:
	s_or_b32 exec_lo, exec_lo, s0
	s_mov_b32 s0, exec_lo
	s_waitcnt lgkmcnt(0)
	buffer_gl0_inv
	v_cmpx_gt_u32_e32 5, v0
	s_cbranch_execz .LBB5_29
; %bb.28:
	ds_read_b128 v[9:12], v17 offset:80
	ds_read_b128 v[13:16], v17
	s_waitcnt lgkmcnt(0)
	v_add_f64 v[9:10], v[9:10], v[13:14]
	v_add_f64 v[11:12], v[11:12], v[15:16]
.LBB5_29:
	s_or_b32 exec_lo, exec_lo, s0
	v_mov_b32_e32 v16, v12
	v_mov_b32_e32 v14, v10
	;; [unrolled: 1-line block ×4, first 2 shown]
.LBB5_30:
	v_cmp_gt_u32_e32 vcc_lo, 5, v0
	s_and_b32 exec_lo, exec_lo, vcc_lo
	s_cbranch_execz .LBB5_35
; %bb.31:
	v_mul_f64 v[9:10], v[15:16], -v[7:8]
	v_mul_f64 v[11:12], v[5:6], v[15:16]
	v_cmp_eq_f64_e32 vcc_lo, 0, v[1:2]
	v_cmp_eq_f64_e64 s0, 0, v[3:4]
	v_fma_f64 v[5:6], v[5:6], v[13:14], v[9:10]
	v_fma_f64 v[7:8], v[7:8], v[13:14], v[11:12]
	s_and_b32 s0, vcc_lo, s0
	s_and_saveexec_b32 s1, s0
	s_xor_b32 s0, exec_lo, s1
	s_cbranch_execz .LBB5_33
; %bb.32:
	v_mad_u64_u32 v[0:1], null, s6, 5, v[0:1]
	v_mov_b32_e32 v1, 0
	v_lshlrev_b64 v[0:1], 4, v[0:1]
	v_add_co_u32 v0, vcc_lo, s8, v0
	v_add_co_ci_u32_e64 v1, null, s9, v1, vcc_lo
	global_store_dwordx4 v[0:1], v[5:8], off
                                        ; implicit-def: $vgpr0
                                        ; implicit-def: $vgpr1_vgpr2
                                        ; implicit-def: $vgpr5_vgpr6
.LBB5_33:
	s_andn2_saveexec_b32 s0, s0
	s_cbranch_execz .LBB5_35
; %bb.34:
	v_mad_u64_u32 v[9:10], null, s6, 5, v[0:1]
	v_mov_b32_e32 v10, 0
	v_lshlrev_b64 v[9:10], 4, v[9:10]
	v_add_co_u32 v13, vcc_lo, s8, v9
	v_add_co_ci_u32_e64 v14, null, s9, v10, vcc_lo
	global_load_dwordx4 v[9:12], v[13:14], off
	s_waitcnt vmcnt(0)
	v_fma_f64 v[5:6], v[1:2], v[9:10], v[5:6]
	v_fma_f64 v[7:8], v[3:4], v[9:10], v[7:8]
	v_fma_f64 v[3:4], -v[3:4], v[11:12], v[5:6]
	v_fma_f64 v[5:6], v[1:2], v[11:12], v[7:8]
	global_store_dwordx4 v[13:14], v[3:6], off
.LBB5_35:
	s_endpgm
	.section	.rodata,"a",@progbits
	.p2align	6, 0x0
	.amdhsa_kernel _ZN9rocsparseL18bsrxmvn_5x5_kernelILj50E21rocsparse_complex_numIdEiiS2_S2_S2_EEvT2_20rocsparse_direction_NS_24const_host_device_scalarIT0_EES3_PKS3_PKT1_SC_S9_PKT3_PKT4_S7_PT5_21rocsparse_index_base_b
		.amdhsa_group_segment_fixed_size 800
		.amdhsa_private_segment_fixed_size 0
		.amdhsa_kernarg_size 112
		.amdhsa_user_sgpr_count 6
		.amdhsa_user_sgpr_private_segment_buffer 1
		.amdhsa_user_sgpr_dispatch_ptr 0
		.amdhsa_user_sgpr_queue_ptr 0
		.amdhsa_user_sgpr_kernarg_segment_ptr 1
		.amdhsa_user_sgpr_dispatch_id 0
		.amdhsa_user_sgpr_flat_scratch_init 0
		.amdhsa_user_sgpr_private_segment_size 0
		.amdhsa_wavefront_size32 1
		.amdhsa_uses_dynamic_stack 0
		.amdhsa_system_sgpr_private_segment_wavefront_offset 0
		.amdhsa_system_sgpr_workgroup_id_x 1
		.amdhsa_system_sgpr_workgroup_id_y 0
		.amdhsa_system_sgpr_workgroup_id_z 0
		.amdhsa_system_sgpr_workgroup_info 0
		.amdhsa_system_vgpr_workitem_id 0
		.amdhsa_next_free_vgpr 28
		.amdhsa_next_free_sgpr 15
		.amdhsa_reserve_vcc 1
		.amdhsa_reserve_flat_scratch 0
		.amdhsa_float_round_mode_32 0
		.amdhsa_float_round_mode_16_64 0
		.amdhsa_float_denorm_mode_32 3
		.amdhsa_float_denorm_mode_16_64 3
		.amdhsa_dx10_clamp 1
		.amdhsa_ieee_mode 1
		.amdhsa_fp16_overflow 0
		.amdhsa_workgroup_processor_mode 1
		.amdhsa_memory_ordered 1
		.amdhsa_forward_progress 1
		.amdhsa_shared_vgpr_count 0
		.amdhsa_exception_fp_ieee_invalid_op 0
		.amdhsa_exception_fp_denorm_src 0
		.amdhsa_exception_fp_ieee_div_zero 0
		.amdhsa_exception_fp_ieee_overflow 0
		.amdhsa_exception_fp_ieee_underflow 0
		.amdhsa_exception_fp_ieee_inexact 0
		.amdhsa_exception_int_div_zero 0
	.end_amdhsa_kernel
	.section	.text._ZN9rocsparseL18bsrxmvn_5x5_kernelILj50E21rocsparse_complex_numIdEiiS2_S2_S2_EEvT2_20rocsparse_direction_NS_24const_host_device_scalarIT0_EES3_PKS3_PKT1_SC_S9_PKT3_PKT4_S7_PT5_21rocsparse_index_base_b,"axG",@progbits,_ZN9rocsparseL18bsrxmvn_5x5_kernelILj50E21rocsparse_complex_numIdEiiS2_S2_S2_EEvT2_20rocsparse_direction_NS_24const_host_device_scalarIT0_EES3_PKS3_PKT1_SC_S9_PKT3_PKT4_S7_PT5_21rocsparse_index_base_b,comdat
.Lfunc_end5:
	.size	_ZN9rocsparseL18bsrxmvn_5x5_kernelILj50E21rocsparse_complex_numIdEiiS2_S2_S2_EEvT2_20rocsparse_direction_NS_24const_host_device_scalarIT0_EES3_PKS3_PKT1_SC_S9_PKT3_PKT4_S7_PT5_21rocsparse_index_base_b, .Lfunc_end5-_ZN9rocsparseL18bsrxmvn_5x5_kernelILj50E21rocsparse_complex_numIdEiiS2_S2_S2_EEvT2_20rocsparse_direction_NS_24const_host_device_scalarIT0_EES3_PKS3_PKT1_SC_S9_PKT3_PKT4_S7_PT5_21rocsparse_index_base_b
                                        ; -- End function
	.set _ZN9rocsparseL18bsrxmvn_5x5_kernelILj50E21rocsparse_complex_numIdEiiS2_S2_S2_EEvT2_20rocsparse_direction_NS_24const_host_device_scalarIT0_EES3_PKS3_PKT1_SC_S9_PKT3_PKT4_S7_PT5_21rocsparse_index_base_b.num_vgpr, 28
	.set _ZN9rocsparseL18bsrxmvn_5x5_kernelILj50E21rocsparse_complex_numIdEiiS2_S2_S2_EEvT2_20rocsparse_direction_NS_24const_host_device_scalarIT0_EES3_PKS3_PKT1_SC_S9_PKT3_PKT4_S7_PT5_21rocsparse_index_base_b.num_agpr, 0
	.set _ZN9rocsparseL18bsrxmvn_5x5_kernelILj50E21rocsparse_complex_numIdEiiS2_S2_S2_EEvT2_20rocsparse_direction_NS_24const_host_device_scalarIT0_EES3_PKS3_PKT1_SC_S9_PKT3_PKT4_S7_PT5_21rocsparse_index_base_b.numbered_sgpr, 15
	.set _ZN9rocsparseL18bsrxmvn_5x5_kernelILj50E21rocsparse_complex_numIdEiiS2_S2_S2_EEvT2_20rocsparse_direction_NS_24const_host_device_scalarIT0_EES3_PKS3_PKT1_SC_S9_PKT3_PKT4_S7_PT5_21rocsparse_index_base_b.num_named_barrier, 0
	.set _ZN9rocsparseL18bsrxmvn_5x5_kernelILj50E21rocsparse_complex_numIdEiiS2_S2_S2_EEvT2_20rocsparse_direction_NS_24const_host_device_scalarIT0_EES3_PKS3_PKT1_SC_S9_PKT3_PKT4_S7_PT5_21rocsparse_index_base_b.private_seg_size, 0
	.set _ZN9rocsparseL18bsrxmvn_5x5_kernelILj50E21rocsparse_complex_numIdEiiS2_S2_S2_EEvT2_20rocsparse_direction_NS_24const_host_device_scalarIT0_EES3_PKS3_PKT1_SC_S9_PKT3_PKT4_S7_PT5_21rocsparse_index_base_b.uses_vcc, 1
	.set _ZN9rocsparseL18bsrxmvn_5x5_kernelILj50E21rocsparse_complex_numIdEiiS2_S2_S2_EEvT2_20rocsparse_direction_NS_24const_host_device_scalarIT0_EES3_PKS3_PKT1_SC_S9_PKT3_PKT4_S7_PT5_21rocsparse_index_base_b.uses_flat_scratch, 0
	.set _ZN9rocsparseL18bsrxmvn_5x5_kernelILj50E21rocsparse_complex_numIdEiiS2_S2_S2_EEvT2_20rocsparse_direction_NS_24const_host_device_scalarIT0_EES3_PKS3_PKT1_SC_S9_PKT3_PKT4_S7_PT5_21rocsparse_index_base_b.has_dyn_sized_stack, 0
	.set _ZN9rocsparseL18bsrxmvn_5x5_kernelILj50E21rocsparse_complex_numIdEiiS2_S2_S2_EEvT2_20rocsparse_direction_NS_24const_host_device_scalarIT0_EES3_PKS3_PKT1_SC_S9_PKT3_PKT4_S7_PT5_21rocsparse_index_base_b.has_recursion, 0
	.set _ZN9rocsparseL18bsrxmvn_5x5_kernelILj50E21rocsparse_complex_numIdEiiS2_S2_S2_EEvT2_20rocsparse_direction_NS_24const_host_device_scalarIT0_EES3_PKS3_PKT1_SC_S9_PKT3_PKT4_S7_PT5_21rocsparse_index_base_b.has_indirect_call, 0
	.section	.AMDGPU.csdata,"",@progbits
; Kernel info:
; codeLenInByte = 1564
; TotalNumSgprs: 17
; NumVgprs: 28
; ScratchSize: 0
; MemoryBound: 0
; FloatMode: 240
; IeeeMode: 1
; LDSByteSize: 800 bytes/workgroup (compile time only)
; SGPRBlocks: 0
; VGPRBlocks: 3
; NumSGPRsForWavesPerEU: 17
; NumVGPRsForWavesPerEU: 28
; Occupancy: 16
; WaveLimiterHint : 1
; COMPUTE_PGM_RSRC2:SCRATCH_EN: 0
; COMPUTE_PGM_RSRC2:USER_SGPR: 6
; COMPUTE_PGM_RSRC2:TRAP_HANDLER: 0
; COMPUTE_PGM_RSRC2:TGID_X_EN: 1
; COMPUTE_PGM_RSRC2:TGID_Y_EN: 0
; COMPUTE_PGM_RSRC2:TGID_Z_EN: 0
; COMPUTE_PGM_RSRC2:TIDIG_COMP_CNT: 0
	.section	.text._ZN9rocsparseL18bsrxmvn_5x5_kernelILj50EflifffEEvT2_20rocsparse_direction_NS_24const_host_device_scalarIT0_EES1_PKS1_PKT1_SA_S7_PKT3_PKT4_S5_PT5_21rocsparse_index_base_b,"axG",@progbits,_ZN9rocsparseL18bsrxmvn_5x5_kernelILj50EflifffEEvT2_20rocsparse_direction_NS_24const_host_device_scalarIT0_EES1_PKS1_PKT1_SA_S7_PKT3_PKT4_S5_PT5_21rocsparse_index_base_b,comdat
	.globl	_ZN9rocsparseL18bsrxmvn_5x5_kernelILj50EflifffEEvT2_20rocsparse_direction_NS_24const_host_device_scalarIT0_EES1_PKS1_PKT1_SA_S7_PKT3_PKT4_S5_PT5_21rocsparse_index_base_b ; -- Begin function _ZN9rocsparseL18bsrxmvn_5x5_kernelILj50EflifffEEvT2_20rocsparse_direction_NS_24const_host_device_scalarIT0_EES1_PKS1_PKT1_SA_S7_PKT3_PKT4_S5_PT5_21rocsparse_index_base_b
	.p2align	8
	.type	_ZN9rocsparseL18bsrxmvn_5x5_kernelILj50EflifffEEvT2_20rocsparse_direction_NS_24const_host_device_scalarIT0_EES1_PKS1_PKT1_SA_S7_PKT3_PKT4_S5_PT5_21rocsparse_index_base_b,@function
_ZN9rocsparseL18bsrxmvn_5x5_kernelILj50EflifffEEvT2_20rocsparse_direction_NS_24const_host_device_scalarIT0_EES1_PKS1_PKT1_SA_S7_PKT3_PKT4_S5_PT5_21rocsparse_index_base_b: ; @_ZN9rocsparseL18bsrxmvn_5x5_kernelILj50EflifffEEvT2_20rocsparse_direction_NS_24const_host_device_scalarIT0_EES1_PKS1_PKT1_SA_S7_PKT3_PKT4_S5_PT5_21rocsparse_index_base_b
; %bb.0:
	s_clause 0x2
	s_load_dwordx2 s[12:13], s[4:5], 0x58
	s_load_dwordx2 s[10:11], s[4:5], 0x8
	;; [unrolled: 1-line block ×3, first 2 shown]
	s_waitcnt lgkmcnt(0)
	s_bitcmp1_b32 s13, 0
	s_cselect_b32 s0, -1, 0
	s_and_b32 vcc_lo, exec_lo, s0
	s_xor_b32 s0, s0, -1
	s_cbranch_vccnz .LBB6_2
; %bb.1:
	s_load_dword s10, s[10:11], 0x0
.LBB6_2:
	s_andn2_b32 vcc_lo, exec_lo, s0
	s_cbranch_vccnz .LBB6_4
; %bb.3:
	s_load_dword s8, s[8:9], 0x0
.LBB6_4:
	s_waitcnt lgkmcnt(0)
	v_cmp_neq_f32_e64 s0, s10, 0
	v_cmp_neq_f32_e64 s1, s8, 1.0
	s_or_b32 s0, s0, s1
	s_andn2_b32 vcc_lo, exec_lo, s0
	s_cbranch_vccnz .LBB6_36
; %bb.5:
	s_clause 0x1
	s_load_dwordx4 s[0:3], s[4:5], 0x18
	s_load_dwordx2 s[14:15], s[4:5], 0x28
	s_waitcnt lgkmcnt(0)
	s_cmp_eq_u64 s[0:1], 0
	s_cbranch_scc1 .LBB6_7
; %bb.6:
	s_ashr_i32 s7, s6, 31
	s_lshl_b64 s[6:7], s[6:7], 2
	s_add_u32 s0, s0, s6
	s_addc_u32 s1, s1, s7
	s_load_dword s0, s[0:1], 0x0
	s_waitcnt lgkmcnt(0)
	s_sub_i32 s6, s0, s12
.LBB6_7:
	s_load_dword s1, s[4:5], 0x4
	v_mul_u32_u24_e32 v1, 0x3334, v0
	v_mov_b32_e32 v2, 0
	v_lshrrev_b32_e32 v3, 16, v1
	v_mul_lo_u16 v1, v3, 5
	v_sub_nc_u16 v8, v0, v1
	v_lshlrev_b32_e32 v1, 2, v0
	s_waitcnt lgkmcnt(0)
	s_cmp_eq_u32 s1, 1
	s_cselect_b32 s0, -1, 0
	s_cmp_lg_u32 s1, 1
	s_cselect_b32 s9, -1, 0
	s_ashr_i32 s7, s6, 31
	s_lshl_b64 s[16:17], s[6:7], 3
	s_add_u32 s2, s2, s16
	s_addc_u32 s3, s3, s17
	s_add_u32 s1, s2, 8
	s_addc_u32 s7, s3, 0
	;; [unrolled: 2-line block ×3, first 2 shown]
	s_cmp_eq_u64 s[14:15], 0
	s_cselect_b32 s15, s7, s13
	s_cselect_b32 s14, s1, s11
	s_load_dwordx2 s[16:17], s[2:3], 0x0
	s_load_dwordx2 s[14:15], s[14:15], 0x0
	;; [unrolled: 1-line block ×3, first 2 shown]
	s_waitcnt lgkmcnt(0)
	v_cmp_ge_i64_e64 s1, s[16:17], s[14:15]
	s_and_b32 vcc_lo, exec_lo, s1
	s_cbranch_vccnz .LBB6_12
; %bb.8:
	v_mul_lo_u16 v2, v3, 52
	v_mov_b32_e32 v6, 0xa3e
	s_clause 0x1
	s_load_dwordx4 s[20:23], s[4:5], 0x30
	s_load_dwordx2 s[4:5], s[4:5], 0x40
	v_and_b32_e32 v10, 0xffff, v8
	s_mul_i32 s7, s12, 0x64
	v_lshrrev_b16 v4, 8, v2
	v_mov_b32_e32 v2, 0
	v_mul_u32_u24_sdwa v6, v0, v6 dst_sel:DWORD dst_unused:UNUSED_PAD src0_sel:WORD_0 src1_sel:DWORD
	s_mul_hi_u32 s1, s12, 0x64
	s_sub_u32 s14, s14, s12
	v_mul_lo_u16 v7, v4, 5
	v_mad_u64_u32 v[4:5], null, 0x64, s16, v[1:2]
	v_lshrrev_b32_e32 v9, 16, v6
	s_subb_u32 s15, s15, 0
	v_sub_nc_u16 v7, v3, v7
	v_add_co_u32 v11, s11, s16, v9
	v_mov_b32_e32 v3, v5
	v_and_b32_e32 v7, 0xff, v7
	v_add_co_ci_u32_e64 v12, null, s17, 0, s11
	v_mad_u64_u32 v[5:6], null, 0x64, s17, v[3:4]
	v_sub_co_u32 v6, vcc_lo, v11, s12
	v_cndmask_b32_e64 v3, v10, v7, s0
	v_subrev_co_ci_u32_e64 v7, null, 0, v12, vcc_lo
	v_sub_co_u32 v4, vcc_lo, v4, s7
	v_subrev_co_ci_u32_e64 v5, null, s1, v5, vcc_lo
	v_lshlrev_b64 v[6:7], 2, v[6:7]
	s_waitcnt lgkmcnt(0)
	v_add_co_u32 v4, vcc_lo, s22, v4
	v_add_co_ci_u32_e64 v5, null, s23, v5, vcc_lo
	s_sub_u32 s0, s16, s12
	v_add_co_u32 v6, vcc_lo, s20, v6
	v_add_co_ci_u32_e64 v7, null, s21, v7, vcc_lo
	s_subb_u32 s1, s17, 0
	s_inst_prefetch 0x1
	s_branch .LBB6_10
	.p2align	6
.LBB6_9:                                ;   in Loop: Header=BB6_10 Depth=1
	s_or_b32 exec_lo, exec_lo, s7
	s_add_u32 s0, s0, 2
	s_addc_u32 s1, s1, 0
	v_add_co_u32 v4, vcc_lo, 0xc8, v4
	v_cmp_ge_i64_e64 s7, s[0:1], s[14:15]
	v_add_co_ci_u32_e64 v5, null, 0, v5, vcc_lo
	v_add_co_u32 v6, vcc_lo, v6, 8
	v_add_co_ci_u32_e64 v7, null, 0, v7, vcc_lo
	s_and_b32 vcc_lo, exec_lo, s7
	s_cbranch_vccnz .LBB6_12
.LBB6_10:                               ; =>This Inner Loop Header: Depth=1
	v_add_co_u32 v10, s7, v9, s0
	v_add_co_ci_u32_e64 v11, null, 0, s1, s7
	s_mov_b32 s7, exec_lo
	v_cmpx_gt_i64_e64 s[14:15], v[10:11]
	s_cbranch_execz .LBB6_9
; %bb.11:                               ;   in Loop: Header=BB6_10 Depth=1
	global_load_dword v10, v[6:7], off
	s_waitcnt vmcnt(0)
	v_subrev_nc_u32_e32 v10, s12, v10
	v_mad_u64_u32 v[10:11], null, v10, 5, v[3:4]
	v_ashrrev_i32_e32 v11, 31, v10
	v_lshlrev_b64 v[10:11], 2, v[10:11]
	v_add_co_u32 v10, vcc_lo, s4, v10
	v_add_co_ci_u32_e64 v11, null, s5, v11, vcc_lo
	global_load_dword v12, v[4:5], off
	global_load_dword v10, v[10:11], off
	s_waitcnt vmcnt(0)
	v_fmac_f32_e32 v2, v12, v10
	s_branch .LBB6_9
.LBB6_12:
	s_inst_prefetch 0x2
	s_and_b32 vcc_lo, exec_lo, s9
	ds_write_b32 v1, v2
	s_waitcnt lgkmcnt(0)
	buffer_gl0_inv
	s_cbranch_vccz .LBB6_22
; %bb.13:
	s_mov_b32 s0, exec_lo
	v_cmpx_gt_u32_e32 25, v0
	s_cbranch_execz .LBB6_15
; %bb.14:
	ds_read2_b32 v[3:4], v1 offset1:25
	s_waitcnt lgkmcnt(0)
	v_add_f32_e32 v3, v4, v3
	ds_write_b32 v1, v3
.LBB6_15:
	s_or_b32 exec_lo, exec_lo, s0
	s_mov_b32 s0, exec_lo
	s_waitcnt lgkmcnt(0)
	buffer_gl0_inv
	v_cmpx_eq_u16_e32 0, v8
	s_cbranch_execz .LBB6_17
; %bb.16:
	ds_read2_b32 v[3:4], v1 offset1:4
	s_waitcnt lgkmcnt(0)
	v_add_f32_e32 v3, v4, v3
	ds_write_b32 v1, v3
.LBB6_17:
	s_or_b32 exec_lo, exec_lo, s0
	s_mov_b32 s0, exec_lo
	s_waitcnt lgkmcnt(0)
	buffer_gl0_inv
	v_cmpx_gt_u16_e32 2, v8
	s_cbranch_execz .LBB6_19
; %bb.18:
	ds_read2_b32 v[3:4], v1 offset1:2
	s_waitcnt lgkmcnt(0)
	v_add_f32_e32 v3, v4, v3
	ds_write_b32 v1, v3
.LBB6_19:
	s_or_b32 exec_lo, exec_lo, s0
	v_mov_b32_e32 v3, v2
	s_mov_b32 s0, exec_lo
	s_waitcnt lgkmcnt(0)
	buffer_gl0_inv
	v_cmpx_gt_u32_e32 5, v0
	s_cbranch_execz .LBB6_21
; %bb.20:
	v_lshl_add_u32 v3, v0, 4, v1
	ds_read2_b32 v[3:4], v3 offset1:1
	s_waitcnt lgkmcnt(0)
	v_add_f32_e32 v3, v3, v4
.LBB6_21:
	s_or_b32 exec_lo, exec_lo, s0
	s_branch .LBB6_32
.LBB6_22:
                                        ; implicit-def: $vgpr3
	s_cbranch_execz .LBB6_32
; %bb.23:
	v_cmp_gt_u32_e32 vcc_lo, 10, v0
	s_and_saveexec_b32 s0, vcc_lo
	s_cbranch_execz .LBB6_25
; %bb.24:
	ds_read2_b32 v[3:4], v1 offset1:40
	s_waitcnt lgkmcnt(0)
	v_add_f32_e32 v3, v4, v3
	ds_write_b32 v1, v3
.LBB6_25:
	s_or_b32 exec_lo, exec_lo, s0
	s_mov_b32 s1, exec_lo
	s_waitcnt lgkmcnt(0)
	buffer_gl0_inv
	v_cmpx_gt_u32_e32 20, v0
	s_cbranch_execz .LBB6_27
; %bb.26:
	ds_read2_b32 v[3:4], v1 offset1:20
	s_waitcnt lgkmcnt(0)
	v_add_f32_e32 v3, v4, v3
	ds_write_b32 v1, v3
.LBB6_27:
	s_or_b32 exec_lo, exec_lo, s1
	s_waitcnt lgkmcnt(0)
	buffer_gl0_inv
	s_and_saveexec_b32 s0, vcc_lo
	s_cbranch_execz .LBB6_29
; %bb.28:
	ds_read2_b32 v[3:4], v1 offset1:10
	s_waitcnt lgkmcnt(0)
	v_add_f32_e32 v3, v4, v3
	ds_write_b32 v1, v3
.LBB6_29:
	s_or_b32 exec_lo, exec_lo, s0
	s_mov_b32 s0, exec_lo
	s_waitcnt lgkmcnt(0)
	buffer_gl0_inv
	v_cmpx_gt_u32_e32 5, v0
	s_cbranch_execz .LBB6_31
; %bb.30:
	ds_read2_b32 v[1:2], v1 offset1:5
	s_waitcnt lgkmcnt(0)
	v_add_f32_e32 v2, v1, v2
.LBB6_31:
	s_or_b32 exec_lo, exec_lo, s0
	v_mov_b32_e32 v3, v2
.LBB6_32:
	s_mov_b32 s0, exec_lo
	v_cmpx_gt_u32_e32 5, v0
	s_cbranch_execz .LBB6_36
; %bb.33:
	v_cmp_eq_f32_e64 s0, s8, 0
	v_mul_f32_e32 v1, s10, v3
	s_and_b32 vcc_lo, exec_lo, s0
	s_mov_b32 s0, 0
	s_cbranch_vccz .LBB6_37
; %bb.34:
	v_mad_u64_u32 v[2:3], null, s6, 5, v[0:1]
	v_mov_b32_e32 v3, 0
	v_lshlrev_b64 v[2:3], 2, v[2:3]
	v_add_co_u32 v2, vcc_lo, s2, v2
	v_add_co_ci_u32_e64 v3, null, s3, v3, vcc_lo
	global_store_dword v[2:3], v1, off
	s_andn2_b32 vcc_lo, exec_lo, s0
	s_cbranch_vccnz .LBB6_36
.LBB6_35:
	v_mad_u64_u32 v[2:3], null, s6, 5, v[0:1]
	v_mov_b32_e32 v3, 0
	v_lshlrev_b64 v[2:3], 2, v[2:3]
	v_add_co_u32 v2, vcc_lo, s2, v2
	v_add_co_ci_u32_e64 v3, null, s3, v3, vcc_lo
	global_load_dword v0, v[2:3], off
	s_waitcnt vmcnt(0)
	v_fmac_f32_e32 v1, s8, v0
	global_store_dword v[2:3], v1, off
.LBB6_36:
	s_endpgm
.LBB6_37:
	s_branch .LBB6_35
	.section	.rodata,"a",@progbits
	.p2align	6, 0x0
	.amdhsa_kernel _ZN9rocsparseL18bsrxmvn_5x5_kernelILj50EflifffEEvT2_20rocsparse_direction_NS_24const_host_device_scalarIT0_EES1_PKS1_PKT1_SA_S7_PKT3_PKT4_S5_PT5_21rocsparse_index_base_b
		.amdhsa_group_segment_fixed_size 200
		.amdhsa_private_segment_fixed_size 0
		.amdhsa_kernarg_size 96
		.amdhsa_user_sgpr_count 6
		.amdhsa_user_sgpr_private_segment_buffer 1
		.amdhsa_user_sgpr_dispatch_ptr 0
		.amdhsa_user_sgpr_queue_ptr 0
		.amdhsa_user_sgpr_kernarg_segment_ptr 1
		.amdhsa_user_sgpr_dispatch_id 0
		.amdhsa_user_sgpr_flat_scratch_init 0
		.amdhsa_user_sgpr_private_segment_size 0
		.amdhsa_wavefront_size32 1
		.amdhsa_uses_dynamic_stack 0
		.amdhsa_system_sgpr_private_segment_wavefront_offset 0
		.amdhsa_system_sgpr_workgroup_id_x 1
		.amdhsa_system_sgpr_workgroup_id_y 0
		.amdhsa_system_sgpr_workgroup_id_z 0
		.amdhsa_system_sgpr_workgroup_info 0
		.amdhsa_system_vgpr_workitem_id 0
		.amdhsa_next_free_vgpr 13
		.amdhsa_next_free_sgpr 24
		.amdhsa_reserve_vcc 1
		.amdhsa_reserve_flat_scratch 0
		.amdhsa_float_round_mode_32 0
		.amdhsa_float_round_mode_16_64 0
		.amdhsa_float_denorm_mode_32 3
		.amdhsa_float_denorm_mode_16_64 3
		.amdhsa_dx10_clamp 1
		.amdhsa_ieee_mode 1
		.amdhsa_fp16_overflow 0
		.amdhsa_workgroup_processor_mode 1
		.amdhsa_memory_ordered 1
		.amdhsa_forward_progress 1
		.amdhsa_shared_vgpr_count 0
		.amdhsa_exception_fp_ieee_invalid_op 0
		.amdhsa_exception_fp_denorm_src 0
		.amdhsa_exception_fp_ieee_div_zero 0
		.amdhsa_exception_fp_ieee_overflow 0
		.amdhsa_exception_fp_ieee_underflow 0
		.amdhsa_exception_fp_ieee_inexact 0
		.amdhsa_exception_int_div_zero 0
	.end_amdhsa_kernel
	.section	.text._ZN9rocsparseL18bsrxmvn_5x5_kernelILj50EflifffEEvT2_20rocsparse_direction_NS_24const_host_device_scalarIT0_EES1_PKS1_PKT1_SA_S7_PKT3_PKT4_S5_PT5_21rocsparse_index_base_b,"axG",@progbits,_ZN9rocsparseL18bsrxmvn_5x5_kernelILj50EflifffEEvT2_20rocsparse_direction_NS_24const_host_device_scalarIT0_EES1_PKS1_PKT1_SA_S7_PKT3_PKT4_S5_PT5_21rocsparse_index_base_b,comdat
.Lfunc_end6:
	.size	_ZN9rocsparseL18bsrxmvn_5x5_kernelILj50EflifffEEvT2_20rocsparse_direction_NS_24const_host_device_scalarIT0_EES1_PKS1_PKT1_SA_S7_PKT3_PKT4_S5_PT5_21rocsparse_index_base_b, .Lfunc_end6-_ZN9rocsparseL18bsrxmvn_5x5_kernelILj50EflifffEEvT2_20rocsparse_direction_NS_24const_host_device_scalarIT0_EES1_PKS1_PKT1_SA_S7_PKT3_PKT4_S5_PT5_21rocsparse_index_base_b
                                        ; -- End function
	.set _ZN9rocsparseL18bsrxmvn_5x5_kernelILj50EflifffEEvT2_20rocsparse_direction_NS_24const_host_device_scalarIT0_EES1_PKS1_PKT1_SA_S7_PKT3_PKT4_S5_PT5_21rocsparse_index_base_b.num_vgpr, 13
	.set _ZN9rocsparseL18bsrxmvn_5x5_kernelILj50EflifffEEvT2_20rocsparse_direction_NS_24const_host_device_scalarIT0_EES1_PKS1_PKT1_SA_S7_PKT3_PKT4_S5_PT5_21rocsparse_index_base_b.num_agpr, 0
	.set _ZN9rocsparseL18bsrxmvn_5x5_kernelILj50EflifffEEvT2_20rocsparse_direction_NS_24const_host_device_scalarIT0_EES1_PKS1_PKT1_SA_S7_PKT3_PKT4_S5_PT5_21rocsparse_index_base_b.numbered_sgpr, 24
	.set _ZN9rocsparseL18bsrxmvn_5x5_kernelILj50EflifffEEvT2_20rocsparse_direction_NS_24const_host_device_scalarIT0_EES1_PKS1_PKT1_SA_S7_PKT3_PKT4_S5_PT5_21rocsparse_index_base_b.num_named_barrier, 0
	.set _ZN9rocsparseL18bsrxmvn_5x5_kernelILj50EflifffEEvT2_20rocsparse_direction_NS_24const_host_device_scalarIT0_EES1_PKS1_PKT1_SA_S7_PKT3_PKT4_S5_PT5_21rocsparse_index_base_b.private_seg_size, 0
	.set _ZN9rocsparseL18bsrxmvn_5x5_kernelILj50EflifffEEvT2_20rocsparse_direction_NS_24const_host_device_scalarIT0_EES1_PKS1_PKT1_SA_S7_PKT3_PKT4_S5_PT5_21rocsparse_index_base_b.uses_vcc, 1
	.set _ZN9rocsparseL18bsrxmvn_5x5_kernelILj50EflifffEEvT2_20rocsparse_direction_NS_24const_host_device_scalarIT0_EES1_PKS1_PKT1_SA_S7_PKT3_PKT4_S5_PT5_21rocsparse_index_base_b.uses_flat_scratch, 0
	.set _ZN9rocsparseL18bsrxmvn_5x5_kernelILj50EflifffEEvT2_20rocsparse_direction_NS_24const_host_device_scalarIT0_EES1_PKS1_PKT1_SA_S7_PKT3_PKT4_S5_PT5_21rocsparse_index_base_b.has_dyn_sized_stack, 0
	.set _ZN9rocsparseL18bsrxmvn_5x5_kernelILj50EflifffEEvT2_20rocsparse_direction_NS_24const_host_device_scalarIT0_EES1_PKS1_PKT1_SA_S7_PKT3_PKT4_S5_PT5_21rocsparse_index_base_b.has_recursion, 0
	.set _ZN9rocsparseL18bsrxmvn_5x5_kernelILj50EflifffEEvT2_20rocsparse_direction_NS_24const_host_device_scalarIT0_EES1_PKS1_PKT1_SA_S7_PKT3_PKT4_S5_PT5_21rocsparse_index_base_b.has_indirect_call, 0
	.section	.AMDGPU.csdata,"",@progbits
; Kernel info:
; codeLenInByte = 1400
; TotalNumSgprs: 26
; NumVgprs: 13
; ScratchSize: 0
; MemoryBound: 0
; FloatMode: 240
; IeeeMode: 1
; LDSByteSize: 200 bytes/workgroup (compile time only)
; SGPRBlocks: 0
; VGPRBlocks: 1
; NumSGPRsForWavesPerEU: 26
; NumVGPRsForWavesPerEU: 13
; Occupancy: 16
; WaveLimiterHint : 1
; COMPUTE_PGM_RSRC2:SCRATCH_EN: 0
; COMPUTE_PGM_RSRC2:USER_SGPR: 6
; COMPUTE_PGM_RSRC2:TRAP_HANDLER: 0
; COMPUTE_PGM_RSRC2:TGID_X_EN: 1
; COMPUTE_PGM_RSRC2:TGID_Y_EN: 0
; COMPUTE_PGM_RSRC2:TGID_Z_EN: 0
; COMPUTE_PGM_RSRC2:TIDIG_COMP_CNT: 0
	.section	.text._ZN9rocsparseL19sbsrxmvn_5x5_kernelILj256EL20rocsparse_direction_0EliEEvT2_NS_24const_host_device_scalarIfEES2_PKS2_PKT1_S9_S6_PKfSB_S4_Pf21rocsparse_index_base_b,"axG",@progbits,_ZN9rocsparseL19sbsrxmvn_5x5_kernelILj256EL20rocsparse_direction_0EliEEvT2_NS_24const_host_device_scalarIfEES2_PKS2_PKT1_S9_S6_PKfSB_S4_Pf21rocsparse_index_base_b,comdat
	.globl	_ZN9rocsparseL19sbsrxmvn_5x5_kernelILj256EL20rocsparse_direction_0EliEEvT2_NS_24const_host_device_scalarIfEES2_PKS2_PKT1_S9_S6_PKfSB_S4_Pf21rocsparse_index_base_b ; -- Begin function _ZN9rocsparseL19sbsrxmvn_5x5_kernelILj256EL20rocsparse_direction_0EliEEvT2_NS_24const_host_device_scalarIfEES2_PKS2_PKT1_S9_S6_PKfSB_S4_Pf21rocsparse_index_base_b
	.p2align	8
	.type	_ZN9rocsparseL19sbsrxmvn_5x5_kernelILj256EL20rocsparse_direction_0EliEEvT2_NS_24const_host_device_scalarIfEES2_PKS2_PKT1_S9_S6_PKfSB_S4_Pf21rocsparse_index_base_b,@function
_ZN9rocsparseL19sbsrxmvn_5x5_kernelILj256EL20rocsparse_direction_0EliEEvT2_NS_24const_host_device_scalarIfEES2_PKS2_PKT1_S9_S6_PKfSB_S4_Pf21rocsparse_index_base_b: ; @_ZN9rocsparseL19sbsrxmvn_5x5_kernelILj256EL20rocsparse_direction_0EliEEvT2_NS_24const_host_device_scalarIfEES2_PKS2_PKT1_S9_S6_PKfSB_S4_Pf21rocsparse_index_base_b
; %bb.0:
	s_clause 0x2
	s_load_dwordx2 s[14:15], s[4:5], 0x58
	s_load_dwordx2 s[2:3], s[4:5], 0x8
	s_load_dwordx2 s[12:13], s[4:5], 0x48
	s_waitcnt lgkmcnt(0)
	s_bitcmp1_b32 s15, 0
	s_cselect_b32 s0, -1, 0
	s_and_b32 vcc_lo, exec_lo, s0
	s_xor_b32 s0, s0, -1
	s_cbranch_vccnz .LBB7_2
; %bb.1:
	s_load_dword s2, s[2:3], 0x0
.LBB7_2:
	s_andn2_b32 vcc_lo, exec_lo, s0
	s_cbranch_vccnz .LBB7_4
; %bb.3:
	s_load_dword s12, s[12:13], 0x0
.LBB7_4:
	s_waitcnt lgkmcnt(0)
	v_cmp_neq_f32_e64 s0, s2, 0
	v_cmp_neq_f32_e64 s1, s12, 1.0
	s_or_b32 s0, s0, s1
	s_andn2_b32 vcc_lo, exec_lo, s0
	s_cbranch_vccnz .LBB7_20
; %bb.5:
	s_clause 0x1
	s_load_dword s3, s[4:5], 0x6c
	s_load_dwordx2 s[0:1], s[4:5], 0x18
	s_waitcnt lgkmcnt(0)
	s_lshr_b32 s3, s3, 16
	s_cmp_eq_u64 s[0:1], 0
	v_mad_u64_u32 v[1:2], null, s6, s3, v[1:2]
	s_cbranch_scc1 .LBB7_7
; %bb.6:
	v_ashrrev_i32_e32 v2, 31, v1
	v_lshlrev_b64 v[1:2], 2, v[1:2]
	v_add_co_u32 v1, vcc_lo, s0, v1
	v_add_co_ci_u32_e64 v2, null, s1, v2, vcc_lo
	global_load_dword v1, v[1:2], off
	s_waitcnt vmcnt(0)
	v_subrev_nc_u32_e32 v1, s14, v1
.LBB7_7:
	s_load_dword s0, s[4:5], 0x0
	s_waitcnt lgkmcnt(0)
	v_cmp_gt_i32_e32 vcc_lo, s0, v1
	v_cmp_gt_u32_e64 s0, 25, v0
	s_and_b32 s0, vcc_lo, s0
	s_and_saveexec_b32 s1, s0
	s_cbranch_execz .LBB7_20
; %bb.8:
	s_clause 0x1
	s_load_dwordx4 s[8:11], s[4:5], 0x20
	s_load_dwordx2 s[6:7], s[4:5], 0x50
	v_ashrrev_i32_e32 v2, 31, v1
	v_mov_b32_e32 v16, 0
	s_mov_b32 s1, exec_lo
	v_lshlrev_b64 v[2:3], 3, v[1:2]
	s_waitcnt lgkmcnt(0)
	v_add_co_u32 v4, vcc_lo, s8, v2
	v_add_co_ci_u32_e64 v5, null, s9, v3, vcc_lo
	v_add_co_u32 v2, vcc_lo, s10, v2
	v_add_co_ci_u32_e64 v3, null, s11, v3, vcc_lo
	;; [unrolled: 2-line block ×3, first 2 shown]
	s_cmp_eq_u64 s[10:11], 0
	s_cselect_b32 vcc_lo, -1, 0
	v_cndmask_b32_e32 v3, v3, v7, vcc_lo
	v_cndmask_b32_e32 v2, v2, v6, vcc_lo
	global_load_dwordx2 v[10:11], v[4:5], off
	global_load_dwordx2 v[3:4], v[2:3], off
	v_mul_u32_u24_e32 v2, 0xcccd, v0
	v_lshrrev_b32_e32 v5, 18, v2
	v_mul_lo_u16 v2, v5, 5
	v_sub_nc_u16 v2, v0, v2
	v_and_b32_e32 v2, 0xffff, v2
	s_waitcnt vmcnt(0)
	v_cmpx_lt_i64_e64 v[10:11], v[3:4]
	s_cbranch_execz .LBB7_18
; %bb.9:
	s_clause 0x1
	s_load_dwordx4 s[8:11], s[4:5], 0x30
	s_load_dwordx2 s[4:5], s[4:5], 0x40
	v_sub_co_u32 v3, vcc_lo, v3, s14
	v_subrev_co_ci_u32_e64 v4, null, 0, v4, vcc_lo
	v_and_b32_e32 v5, 0xffff, v5
	v_mul_u32_u24_e32 v8, 5, v2
	v_sub_co_u32 v6, vcc_lo, v10, s14
	v_subrev_co_ci_u32_e64 v7, null, 0, v11, vcc_lo
	v_add_lshl_u32 v8, v8, v5, 2
	v_add_co_u32 v12, vcc_lo, v6, 1
	v_add_co_ci_u32_e64 v13, null, 0, v7, vcc_lo
	v_mov_b32_e32 v16, 0
	s_mov_b32 s15, 0
	s_mov_b32 s3, exec_lo
	s_waitcnt lgkmcnt(0)
	v_add_co_u32 v8, s0, s10, v8
	v_add_co_ci_u32_e64 v9, null, s11, 0, s0
	v_cmp_gt_i64_e32 vcc_lo, v[12:13], v[3:4]
	v_mad_u64_u32 v[8:9], null, 0x64, v6, v[8:9]
	v_cndmask_b32_e32 v12, v3, v12, vcc_lo
	v_cndmask_b32_e32 v13, v4, v13, vcc_lo
	v_add_co_u32 v17, vcc_lo, v12, s14
	v_add_co_ci_u32_e64 v18, null, 0, v13, vcc_lo
	v_mad_u64_u32 v[13:14], null, 0x64, v7, v[9:10]
	v_sub_nc_u32_e32 v12, v17, v10
	v_and_b32_e32 v12, 3, v12
	v_mov_b32_e32 v9, v13
	v_cmpx_ne_u32_e32 0, v12
	s_cbranch_execz .LBB7_13
; %bb.10:
	v_lshlrev_b64 v[14:15], 2, v[10:11]
	s_lshl_b64 s[10:11], s[14:15], 2
	v_mul_hi_u32_u24_e32 v13, 25, v12
	v_mul_u32_u24_e32 v12, 25, v12
	v_mov_b32_e32 v16, 0
	v_sub_co_u32 v14, vcc_lo, v14, s10
	v_subrev_co_ci_u32_e64 v15, null, s11, v15, vcc_lo
	v_add_co_u32 v14, vcc_lo, s8, v14
	v_add_co_ci_u32_e64 v15, null, s9, v15, vcc_lo
	s_inst_prefetch 0x1
	.p2align	6
.LBB7_11:                               ; =>This Inner Loop Header: Depth=1
	global_load_dword v19, v[14:15], off
	v_add_co_u32 v14, s0, v14, 4
	v_add_co_ci_u32_e64 v15, null, 0, v15, s0
	s_waitcnt vmcnt(0)
	v_subrev_nc_u32_e32 v19, s14, v19
	v_mad_u64_u32 v[19:20], null, v19, 5, v[5:6]
	v_ashrrev_i32_e32 v20, 31, v19
	v_lshlrev_b64 v[19:20], 2, v[19:20]
	v_add_co_u32 v19, vcc_lo, s4, v19
	v_add_co_ci_u32_e64 v20, null, s5, v20, vcc_lo
	global_load_dword v21, v[8:9], off
	global_load_dword v19, v[19:20], off
	v_add_co_u32 v8, vcc_lo, 0x64, v8
	v_add_co_ci_u32_e64 v9, null, 0, v9, vcc_lo
	v_add_co_u32 v12, vcc_lo, 0xffffffe7, v12
	v_add_co_ci_u32_e64 v13, null, -1, v13, vcc_lo
	v_add_co_u32 v6, vcc_lo, v6, 1
	v_add_co_ci_u32_e64 v7, null, 0, v7, vcc_lo
	v_cmp_eq_u64_e32 vcc_lo, 0, v[12:13]
	s_or_b32 s15, vcc_lo, s15
	s_waitcnt vmcnt(0)
	v_fmac_f32_e32 v16, v21, v19
	s_andn2_b32 exec_lo, exec_lo, s15
	s_cbranch_execnz .LBB7_11
; %bb.12:
	s_inst_prefetch 0x2
	s_or_b32 exec_lo, exec_lo, s15
.LBB7_13:
	s_or_b32 exec_lo, exec_lo, s3
	v_sub_co_u32 v10, vcc_lo, v10, v17
	v_sub_co_ci_u32_e64 v11, null, v11, v18, vcc_lo
	s_mov_b32 s3, exec_lo
	v_cmpx_gt_u64_e32 -3, v[10:11]
	s_cbranch_execz .LBB7_17
; %bb.14:
	v_lshlrev_b64 v[10:11], 2, v[6:7]
	v_add_co_u32 v10, vcc_lo, s8, v10
	v_add_co_ci_u32_e64 v11, null, s9, v11, vcc_lo
	s_mov_b32 s8, 0
	v_add_co_u32 v10, vcc_lo, v10, 8
	v_add_co_ci_u32_e64 v11, null, 0, v11, vcc_lo
.LBB7_15:                               ; =>This Inner Loop Header: Depth=1
	global_load_dwordx4 v[12:15], v[10:11], off offset:-8
	s_clause 0x2
	global_load_dword v21, v[8:9], off
	global_load_dword v22, v[8:9], off offset:100
	global_load_dword v23, v[8:9], off offset:200
	v_add_co_u32 v10, s0, v10, 16
	v_add_co_ci_u32_e64 v11, null, 0, v11, s0
	s_waitcnt vmcnt(3)
	v_subrev_nc_u32_e32 v12, s14, v12
	v_subrev_nc_u32_e32 v17, s14, v13
	;; [unrolled: 1-line block ×4, first 2 shown]
	v_mad_u64_u32 v[12:13], null, v12, 5, v[5:6]
	v_mad_u64_u32 v[14:15], null, v17, 5, v[5:6]
	;; [unrolled: 1-line block ×4, first 2 shown]
	v_ashrrev_i32_e32 v13, 31, v12
	v_ashrrev_i32_e32 v15, 31, v14
	;; [unrolled: 1-line block ×3, first 2 shown]
	v_lshlrev_b64 v[12:13], 2, v[12:13]
	v_ashrrev_i32_e32 v20, 31, v19
	v_lshlrev_b64 v[14:15], 2, v[14:15]
	v_lshlrev_b64 v[17:18], 2, v[17:18]
	;; [unrolled: 1-line block ×3, first 2 shown]
	v_add_co_u32 v12, vcc_lo, s4, v12
	v_add_co_ci_u32_e64 v13, null, s5, v13, vcc_lo
	v_add_co_u32 v14, vcc_lo, s4, v14
	v_add_co_ci_u32_e64 v15, null, s5, v15, vcc_lo
	global_load_dword v24, v[12:13], off
	v_add_co_u32 v12, vcc_lo, s4, v17
	global_load_dword v17, v[14:15], off
	v_add_co_ci_u32_e64 v13, null, s5, v18, vcc_lo
	v_add_co_u32 v14, vcc_lo, s4, v19
	v_add_co_ci_u32_e64 v15, null, s5, v20, vcc_lo
	global_load_dword v12, v[12:13], off
	global_load_dword v13, v[8:9], off offset:300
	global_load_dword v14, v[14:15], off
	v_add_co_u32 v6, vcc_lo, v6, 4
	v_add_co_ci_u32_e64 v7, null, 0, v7, vcc_lo
	v_add_co_u32 v8, vcc_lo, 0x190, v8
	v_add_co_ci_u32_e64 v9, null, 0, v9, vcc_lo
	v_cmp_ge_i64_e32 vcc_lo, v[6:7], v[3:4]
	s_or_b32 s8, vcc_lo, s8
	s_waitcnt vmcnt(4)
	v_fmac_f32_e32 v16, v21, v24
	s_waitcnt vmcnt(3)
	v_fmac_f32_e32 v16, v22, v17
	;; [unrolled: 2-line block ×4, first 2 shown]
	s_andn2_b32 exec_lo, exec_lo, s8
	s_cbranch_execnz .LBB7_15
; %bb.16:
	s_or_b32 exec_lo, exec_lo, s8
.LBB7_17:
	s_or_b32 exec_lo, exec_lo, s3
.LBB7_18:
	s_or_b32 exec_lo, exec_lo, s1
	v_lshlrev_b32_e32 v6, 2, v2
	v_cmp_gt_u32_e32 vcc_lo, 5, v0
	ds_bpermute_b32 v3, v6, v16 offset:20
	ds_bpermute_b32 v4, v6, v16 offset:40
	ds_bpermute_b32 v5, v6, v16 offset:60
	ds_bpermute_b32 v6, v6, v16 offset:80
	s_and_b32 exec_lo, exec_lo, vcc_lo
	s_cbranch_execz .LBB7_20
; %bb.19:
	s_waitcnt lgkmcnt(3)
	v_mad_u64_u32 v[0:1], null, v1, 5, v[2:3]
	v_add_f32_e32 v3, v16, v3
	s_waitcnt lgkmcnt(2)
	v_add_f32_e32 v3, v3, v4
	v_ashrrev_i32_e32 v1, 31, v0
	s_waitcnt lgkmcnt(1)
	v_add_f32_e32 v3, v3, v5
	v_lshlrev_b64 v[0:1], 2, v[0:1]
	s_waitcnt lgkmcnt(0)
	v_add_f32_e32 v3, v3, v6
	v_add_co_u32 v0, vcc_lo, s6, v0
	v_add_co_ci_u32_e64 v1, null, s7, v1, vcc_lo
	global_load_dword v2, v[0:1], off
	s_waitcnt vmcnt(0)
	v_mul_f32_e32 v2, s12, v2
	v_fmac_f32_e32 v2, s2, v3
	global_store_dword v[0:1], v2, off
.LBB7_20:
	s_endpgm
	.section	.rodata,"a",@progbits
	.p2align	6, 0x0
	.amdhsa_kernel _ZN9rocsparseL19sbsrxmvn_5x5_kernelILj256EL20rocsparse_direction_0EliEEvT2_NS_24const_host_device_scalarIfEES2_PKS2_PKT1_S9_S6_PKfSB_S4_Pf21rocsparse_index_base_b
		.amdhsa_group_segment_fixed_size 0
		.amdhsa_private_segment_fixed_size 0
		.amdhsa_kernarg_size 352
		.amdhsa_user_sgpr_count 6
		.amdhsa_user_sgpr_private_segment_buffer 1
		.amdhsa_user_sgpr_dispatch_ptr 0
		.amdhsa_user_sgpr_queue_ptr 0
		.amdhsa_user_sgpr_kernarg_segment_ptr 1
		.amdhsa_user_sgpr_dispatch_id 0
		.amdhsa_user_sgpr_flat_scratch_init 0
		.amdhsa_user_sgpr_private_segment_size 0
		.amdhsa_wavefront_size32 1
		.amdhsa_uses_dynamic_stack 0
		.amdhsa_system_sgpr_private_segment_wavefront_offset 0
		.amdhsa_system_sgpr_workgroup_id_x 1
		.amdhsa_system_sgpr_workgroup_id_y 0
		.amdhsa_system_sgpr_workgroup_id_z 0
		.amdhsa_system_sgpr_workgroup_info 0
		.amdhsa_system_vgpr_workitem_id 1
		.amdhsa_next_free_vgpr 25
		.amdhsa_next_free_sgpr 16
		.amdhsa_reserve_vcc 1
		.amdhsa_reserve_flat_scratch 0
		.amdhsa_float_round_mode_32 0
		.amdhsa_float_round_mode_16_64 0
		.amdhsa_float_denorm_mode_32 3
		.amdhsa_float_denorm_mode_16_64 3
		.amdhsa_dx10_clamp 1
		.amdhsa_ieee_mode 1
		.amdhsa_fp16_overflow 0
		.amdhsa_workgroup_processor_mode 1
		.amdhsa_memory_ordered 1
		.amdhsa_forward_progress 1
		.amdhsa_shared_vgpr_count 0
		.amdhsa_exception_fp_ieee_invalid_op 0
		.amdhsa_exception_fp_denorm_src 0
		.amdhsa_exception_fp_ieee_div_zero 0
		.amdhsa_exception_fp_ieee_overflow 0
		.amdhsa_exception_fp_ieee_underflow 0
		.amdhsa_exception_fp_ieee_inexact 0
		.amdhsa_exception_int_div_zero 0
	.end_amdhsa_kernel
	.section	.text._ZN9rocsparseL19sbsrxmvn_5x5_kernelILj256EL20rocsparse_direction_0EliEEvT2_NS_24const_host_device_scalarIfEES2_PKS2_PKT1_S9_S6_PKfSB_S4_Pf21rocsparse_index_base_b,"axG",@progbits,_ZN9rocsparseL19sbsrxmvn_5x5_kernelILj256EL20rocsparse_direction_0EliEEvT2_NS_24const_host_device_scalarIfEES2_PKS2_PKT1_S9_S6_PKfSB_S4_Pf21rocsparse_index_base_b,comdat
.Lfunc_end7:
	.size	_ZN9rocsparseL19sbsrxmvn_5x5_kernelILj256EL20rocsparse_direction_0EliEEvT2_NS_24const_host_device_scalarIfEES2_PKS2_PKT1_S9_S6_PKfSB_S4_Pf21rocsparse_index_base_b, .Lfunc_end7-_ZN9rocsparseL19sbsrxmvn_5x5_kernelILj256EL20rocsparse_direction_0EliEEvT2_NS_24const_host_device_scalarIfEES2_PKS2_PKT1_S9_S6_PKfSB_S4_Pf21rocsparse_index_base_b
                                        ; -- End function
	.set _ZN9rocsparseL19sbsrxmvn_5x5_kernelILj256EL20rocsparse_direction_0EliEEvT2_NS_24const_host_device_scalarIfEES2_PKS2_PKT1_S9_S6_PKfSB_S4_Pf21rocsparse_index_base_b.num_vgpr, 25
	.set _ZN9rocsparseL19sbsrxmvn_5x5_kernelILj256EL20rocsparse_direction_0EliEEvT2_NS_24const_host_device_scalarIfEES2_PKS2_PKT1_S9_S6_PKfSB_S4_Pf21rocsparse_index_base_b.num_agpr, 0
	.set _ZN9rocsparseL19sbsrxmvn_5x5_kernelILj256EL20rocsparse_direction_0EliEEvT2_NS_24const_host_device_scalarIfEES2_PKS2_PKT1_S9_S6_PKfSB_S4_Pf21rocsparse_index_base_b.numbered_sgpr, 16
	.set _ZN9rocsparseL19sbsrxmvn_5x5_kernelILj256EL20rocsparse_direction_0EliEEvT2_NS_24const_host_device_scalarIfEES2_PKS2_PKT1_S9_S6_PKfSB_S4_Pf21rocsparse_index_base_b.num_named_barrier, 0
	.set _ZN9rocsparseL19sbsrxmvn_5x5_kernelILj256EL20rocsparse_direction_0EliEEvT2_NS_24const_host_device_scalarIfEES2_PKS2_PKT1_S9_S6_PKfSB_S4_Pf21rocsparse_index_base_b.private_seg_size, 0
	.set _ZN9rocsparseL19sbsrxmvn_5x5_kernelILj256EL20rocsparse_direction_0EliEEvT2_NS_24const_host_device_scalarIfEES2_PKS2_PKT1_S9_S6_PKfSB_S4_Pf21rocsparse_index_base_b.uses_vcc, 1
	.set _ZN9rocsparseL19sbsrxmvn_5x5_kernelILj256EL20rocsparse_direction_0EliEEvT2_NS_24const_host_device_scalarIfEES2_PKS2_PKT1_S9_S6_PKfSB_S4_Pf21rocsparse_index_base_b.uses_flat_scratch, 0
	.set _ZN9rocsparseL19sbsrxmvn_5x5_kernelILj256EL20rocsparse_direction_0EliEEvT2_NS_24const_host_device_scalarIfEES2_PKS2_PKT1_S9_S6_PKfSB_S4_Pf21rocsparse_index_base_b.has_dyn_sized_stack, 0
	.set _ZN9rocsparseL19sbsrxmvn_5x5_kernelILj256EL20rocsparse_direction_0EliEEvT2_NS_24const_host_device_scalarIfEES2_PKS2_PKT1_S9_S6_PKfSB_S4_Pf21rocsparse_index_base_b.has_recursion, 0
	.set _ZN9rocsparseL19sbsrxmvn_5x5_kernelILj256EL20rocsparse_direction_0EliEEvT2_NS_24const_host_device_scalarIfEES2_PKS2_PKT1_S9_S6_PKfSB_S4_Pf21rocsparse_index_base_b.has_indirect_call, 0
	.section	.AMDGPU.csdata,"",@progbits
; Kernel info:
; codeLenInByte = 1452
; TotalNumSgprs: 18
; NumVgprs: 25
; ScratchSize: 0
; MemoryBound: 0
; FloatMode: 240
; IeeeMode: 1
; LDSByteSize: 0 bytes/workgroup (compile time only)
; SGPRBlocks: 0
; VGPRBlocks: 3
; NumSGPRsForWavesPerEU: 18
; NumVGPRsForWavesPerEU: 25
; Occupancy: 16
; WaveLimiterHint : 1
; COMPUTE_PGM_RSRC2:SCRATCH_EN: 0
; COMPUTE_PGM_RSRC2:USER_SGPR: 6
; COMPUTE_PGM_RSRC2:TRAP_HANDLER: 0
; COMPUTE_PGM_RSRC2:TGID_X_EN: 1
; COMPUTE_PGM_RSRC2:TGID_Y_EN: 0
; COMPUTE_PGM_RSRC2:TGID_Z_EN: 0
; COMPUTE_PGM_RSRC2:TIDIG_COMP_CNT: 1
	.section	.text._ZN9rocsparseL19sbsrxmvn_5x5_kernelILj256EL20rocsparse_direction_1EliEEvT2_NS_24const_host_device_scalarIfEES2_PKS2_PKT1_S9_S6_PKfSB_S4_Pf21rocsparse_index_base_b,"axG",@progbits,_ZN9rocsparseL19sbsrxmvn_5x5_kernelILj256EL20rocsparse_direction_1EliEEvT2_NS_24const_host_device_scalarIfEES2_PKS2_PKT1_S9_S6_PKfSB_S4_Pf21rocsparse_index_base_b,comdat
	.globl	_ZN9rocsparseL19sbsrxmvn_5x5_kernelILj256EL20rocsparse_direction_1EliEEvT2_NS_24const_host_device_scalarIfEES2_PKS2_PKT1_S9_S6_PKfSB_S4_Pf21rocsparse_index_base_b ; -- Begin function _ZN9rocsparseL19sbsrxmvn_5x5_kernelILj256EL20rocsparse_direction_1EliEEvT2_NS_24const_host_device_scalarIfEES2_PKS2_PKT1_S9_S6_PKfSB_S4_Pf21rocsparse_index_base_b
	.p2align	8
	.type	_ZN9rocsparseL19sbsrxmvn_5x5_kernelILj256EL20rocsparse_direction_1EliEEvT2_NS_24const_host_device_scalarIfEES2_PKS2_PKT1_S9_S6_PKfSB_S4_Pf21rocsparse_index_base_b,@function
_ZN9rocsparseL19sbsrxmvn_5x5_kernelILj256EL20rocsparse_direction_1EliEEvT2_NS_24const_host_device_scalarIfEES2_PKS2_PKT1_S9_S6_PKfSB_S4_Pf21rocsparse_index_base_b: ; @_ZN9rocsparseL19sbsrxmvn_5x5_kernelILj256EL20rocsparse_direction_1EliEEvT2_NS_24const_host_device_scalarIfEES2_PKS2_PKT1_S9_S6_PKfSB_S4_Pf21rocsparse_index_base_b
; %bb.0:
	s_clause 0x2
	s_load_dwordx2 s[14:15], s[4:5], 0x58
	s_load_dwordx2 s[2:3], s[4:5], 0x8
	;; [unrolled: 1-line block ×3, first 2 shown]
	s_waitcnt lgkmcnt(0)
	s_bitcmp1_b32 s15, 0
	s_cselect_b32 s0, -1, 0
	s_and_b32 vcc_lo, exec_lo, s0
	s_xor_b32 s0, s0, -1
	s_cbranch_vccnz .LBB8_2
; %bb.1:
	s_load_dword s2, s[2:3], 0x0
.LBB8_2:
	s_andn2_b32 vcc_lo, exec_lo, s0
	s_cbranch_vccnz .LBB8_4
; %bb.3:
	s_load_dword s12, s[12:13], 0x0
.LBB8_4:
	s_waitcnt lgkmcnt(0)
	v_cmp_neq_f32_e64 s0, s2, 0
	v_cmp_neq_f32_e64 s1, s12, 1.0
	s_or_b32 s0, s0, s1
	s_andn2_b32 vcc_lo, exec_lo, s0
	s_cbranch_vccnz .LBB8_20
; %bb.5:
	s_clause 0x1
	s_load_dword s3, s[4:5], 0x6c
	s_load_dwordx2 s[0:1], s[4:5], 0x18
	s_waitcnt lgkmcnt(0)
	s_lshr_b32 s3, s3, 16
	s_cmp_eq_u64 s[0:1], 0
	v_mad_u64_u32 v[1:2], null, s6, s3, v[1:2]
	s_cbranch_scc1 .LBB8_7
; %bb.6:
	v_ashrrev_i32_e32 v2, 31, v1
	v_lshlrev_b64 v[1:2], 2, v[1:2]
	v_add_co_u32 v1, vcc_lo, s0, v1
	v_add_co_ci_u32_e64 v2, null, s1, v2, vcc_lo
	global_load_dword v1, v[1:2], off
	s_waitcnt vmcnt(0)
	v_subrev_nc_u32_e32 v1, s14, v1
.LBB8_7:
	s_load_dword s0, s[4:5], 0x0
	s_waitcnt lgkmcnt(0)
	v_cmp_gt_i32_e32 vcc_lo, s0, v1
	v_cmp_gt_u32_e64 s0, 25, v0
	s_and_b32 s0, vcc_lo, s0
	s_and_saveexec_b32 s1, s0
	s_cbranch_execz .LBB8_20
; %bb.8:
	s_clause 0x1
	s_load_dwordx4 s[8:11], s[4:5], 0x20
	s_load_dwordx2 s[6:7], s[4:5], 0x50
	v_ashrrev_i32_e32 v2, 31, v1
	v_mov_b32_e32 v16, 0
	s_mov_b32 s1, exec_lo
	v_lshlrev_b64 v[2:3], 3, v[1:2]
	s_waitcnt lgkmcnt(0)
	v_add_co_u32 v4, vcc_lo, s8, v2
	v_add_co_ci_u32_e64 v5, null, s9, v3, vcc_lo
	v_add_co_u32 v2, vcc_lo, s10, v2
	v_add_co_ci_u32_e64 v3, null, s11, v3, vcc_lo
	;; [unrolled: 2-line block ×3, first 2 shown]
	s_cmp_eq_u64 s[10:11], 0
	s_cselect_b32 vcc_lo, -1, 0
	v_cndmask_b32_e32 v3, v3, v7, vcc_lo
	v_cndmask_b32_e32 v2, v2, v6, vcc_lo
	global_load_dwordx2 v[10:11], v[4:5], off
	global_load_dwordx2 v[4:5], v[2:3], off
	v_mul_u32_u24_e32 v2, 0xcccd, v0
	v_lshrrev_b32_e32 v3, 18, v2
	v_mul_lo_u16 v2, v3, 5
	v_sub_nc_u16 v2, v0, v2
	v_and_b32_e32 v2, 0xffff, v2
	s_waitcnt vmcnt(0)
	v_cmpx_lt_i64_e64 v[10:11], v[4:5]
	s_cbranch_execz .LBB8_18
; %bb.9:
	s_clause 0x1
	s_load_dwordx4 s[8:11], s[4:5], 0x30
	s_load_dwordx2 s[4:5], s[4:5], 0x40
	v_and_b32_e32 v3, 0xffff, v3
	v_sub_co_u32 v4, vcc_lo, v4, s14
	v_subrev_co_ci_u32_e64 v5, null, 0, v5, vcc_lo
	v_mul_u32_u24_e32 v8, 5, v3
	v_sub_co_u32 v6, vcc_lo, v10, s14
	v_subrev_co_ci_u32_e64 v7, null, 0, v11, vcc_lo
	v_add_lshl_u32 v8, v8, v2, 2
	v_add_co_u32 v12, vcc_lo, v6, 1
	v_add_co_ci_u32_e64 v13, null, 0, v7, vcc_lo
	v_mov_b32_e32 v16, 0
	s_mov_b32 s15, 0
	s_mov_b32 s3, exec_lo
	s_waitcnt lgkmcnt(0)
	v_add_co_u32 v8, s0, s10, v8
	v_add_co_ci_u32_e64 v9, null, s11, 0, s0
	v_cmp_gt_i64_e32 vcc_lo, v[12:13], v[4:5]
	v_mad_u64_u32 v[8:9], null, 0x64, v6, v[8:9]
	v_cndmask_b32_e32 v12, v4, v12, vcc_lo
	v_cndmask_b32_e32 v13, v5, v13, vcc_lo
	v_add_co_u32 v17, vcc_lo, v12, s14
	v_add_co_ci_u32_e64 v18, null, 0, v13, vcc_lo
	v_mad_u64_u32 v[13:14], null, 0x64, v7, v[9:10]
	v_sub_nc_u32_e32 v12, v17, v10
	v_and_b32_e32 v12, 3, v12
	v_mov_b32_e32 v9, v13
	v_cmpx_ne_u32_e32 0, v12
	s_cbranch_execz .LBB8_13
; %bb.10:
	v_lshlrev_b64 v[14:15], 2, v[10:11]
	s_lshl_b64 s[10:11], s[14:15], 2
	v_mul_hi_u32_u24_e32 v13, 25, v12
	v_mul_u32_u24_e32 v12, 25, v12
	v_mov_b32_e32 v16, 0
	v_sub_co_u32 v14, vcc_lo, v14, s10
	v_subrev_co_ci_u32_e64 v15, null, s11, v15, vcc_lo
	v_add_co_u32 v14, vcc_lo, s8, v14
	v_add_co_ci_u32_e64 v15, null, s9, v15, vcc_lo
	s_inst_prefetch 0x1
	.p2align	6
.LBB8_11:                               ; =>This Inner Loop Header: Depth=1
	global_load_dword v19, v[14:15], off
	v_add_co_u32 v14, s0, v14, 4
	v_add_co_ci_u32_e64 v15, null, 0, v15, s0
	s_waitcnt vmcnt(0)
	v_subrev_nc_u32_e32 v19, s14, v19
	v_mad_u64_u32 v[19:20], null, v19, 5, v[3:4]
	v_ashrrev_i32_e32 v20, 31, v19
	v_lshlrev_b64 v[19:20], 2, v[19:20]
	v_add_co_u32 v19, vcc_lo, s4, v19
	v_add_co_ci_u32_e64 v20, null, s5, v20, vcc_lo
	global_load_dword v21, v[8:9], off
	global_load_dword v19, v[19:20], off
	v_add_co_u32 v8, vcc_lo, 0x64, v8
	v_add_co_ci_u32_e64 v9, null, 0, v9, vcc_lo
	v_add_co_u32 v12, vcc_lo, 0xffffffe7, v12
	v_add_co_ci_u32_e64 v13, null, -1, v13, vcc_lo
	v_add_co_u32 v6, vcc_lo, v6, 1
	v_add_co_ci_u32_e64 v7, null, 0, v7, vcc_lo
	v_cmp_eq_u64_e32 vcc_lo, 0, v[12:13]
	s_or_b32 s15, vcc_lo, s15
	s_waitcnt vmcnt(0)
	v_fmac_f32_e32 v16, v21, v19
	s_andn2_b32 exec_lo, exec_lo, s15
	s_cbranch_execnz .LBB8_11
; %bb.12:
	s_inst_prefetch 0x2
	s_or_b32 exec_lo, exec_lo, s15
.LBB8_13:
	s_or_b32 exec_lo, exec_lo, s3
	v_sub_co_u32 v10, vcc_lo, v10, v17
	v_sub_co_ci_u32_e64 v11, null, v11, v18, vcc_lo
	s_mov_b32 s3, exec_lo
	v_cmpx_gt_u64_e32 -3, v[10:11]
	s_cbranch_execz .LBB8_17
; %bb.14:
	v_lshlrev_b64 v[10:11], 2, v[6:7]
	v_add_co_u32 v10, vcc_lo, s8, v10
	v_add_co_ci_u32_e64 v11, null, s9, v11, vcc_lo
	s_mov_b32 s8, 0
	v_add_co_u32 v10, vcc_lo, v10, 8
	v_add_co_ci_u32_e64 v11, null, 0, v11, vcc_lo
.LBB8_15:                               ; =>This Inner Loop Header: Depth=1
	global_load_dwordx4 v[12:15], v[10:11], off offset:-8
	s_clause 0x2
	global_load_dword v21, v[8:9], off
	global_load_dword v22, v[8:9], off offset:100
	global_load_dword v23, v[8:9], off offset:200
	v_add_co_u32 v10, s0, v10, 16
	v_add_co_ci_u32_e64 v11, null, 0, v11, s0
	s_waitcnt vmcnt(3)
	v_subrev_nc_u32_e32 v12, s14, v12
	v_subrev_nc_u32_e32 v17, s14, v13
	;; [unrolled: 1-line block ×4, first 2 shown]
	v_mad_u64_u32 v[12:13], null, v12, 5, v[3:4]
	v_mad_u64_u32 v[14:15], null, v17, 5, v[3:4]
	;; [unrolled: 1-line block ×4, first 2 shown]
	v_ashrrev_i32_e32 v13, 31, v12
	v_ashrrev_i32_e32 v15, 31, v14
	;; [unrolled: 1-line block ×3, first 2 shown]
	v_lshlrev_b64 v[12:13], 2, v[12:13]
	v_ashrrev_i32_e32 v20, 31, v19
	v_lshlrev_b64 v[14:15], 2, v[14:15]
	v_lshlrev_b64 v[17:18], 2, v[17:18]
	;; [unrolled: 1-line block ×3, first 2 shown]
	v_add_co_u32 v12, vcc_lo, s4, v12
	v_add_co_ci_u32_e64 v13, null, s5, v13, vcc_lo
	v_add_co_u32 v14, vcc_lo, s4, v14
	v_add_co_ci_u32_e64 v15, null, s5, v15, vcc_lo
	global_load_dword v24, v[12:13], off
	v_add_co_u32 v12, vcc_lo, s4, v17
	global_load_dword v17, v[14:15], off
	v_add_co_ci_u32_e64 v13, null, s5, v18, vcc_lo
	v_add_co_u32 v14, vcc_lo, s4, v19
	v_add_co_ci_u32_e64 v15, null, s5, v20, vcc_lo
	global_load_dword v12, v[12:13], off
	global_load_dword v13, v[8:9], off offset:300
	global_load_dword v14, v[14:15], off
	v_add_co_u32 v6, vcc_lo, v6, 4
	v_add_co_ci_u32_e64 v7, null, 0, v7, vcc_lo
	v_add_co_u32 v8, vcc_lo, 0x190, v8
	v_add_co_ci_u32_e64 v9, null, 0, v9, vcc_lo
	v_cmp_ge_i64_e32 vcc_lo, v[6:7], v[4:5]
	s_or_b32 s8, vcc_lo, s8
	s_waitcnt vmcnt(4)
	v_fmac_f32_e32 v16, v21, v24
	s_waitcnt vmcnt(3)
	v_fmac_f32_e32 v16, v22, v17
	;; [unrolled: 2-line block ×4, first 2 shown]
	s_andn2_b32 exec_lo, exec_lo, s8
	s_cbranch_execnz .LBB8_15
; %bb.16:
	s_or_b32 exec_lo, exec_lo, s8
.LBB8_17:
	s_or_b32 exec_lo, exec_lo, s3
.LBB8_18:
	s_or_b32 exec_lo, exec_lo, s1
	v_lshlrev_b32_e32 v6, 2, v2
	v_cmp_gt_u32_e32 vcc_lo, 5, v0
	ds_bpermute_b32 v3, v6, v16 offset:20
	ds_bpermute_b32 v4, v6, v16 offset:40
	;; [unrolled: 1-line block ×4, first 2 shown]
	s_and_b32 exec_lo, exec_lo, vcc_lo
	s_cbranch_execz .LBB8_20
; %bb.19:
	s_waitcnt lgkmcnt(3)
	v_mad_u64_u32 v[0:1], null, v1, 5, v[2:3]
	v_add_f32_e32 v3, v16, v3
	s_waitcnt lgkmcnt(2)
	v_add_f32_e32 v3, v3, v4
	v_ashrrev_i32_e32 v1, 31, v0
	s_waitcnt lgkmcnt(1)
	v_add_f32_e32 v3, v3, v5
	v_lshlrev_b64 v[0:1], 2, v[0:1]
	s_waitcnt lgkmcnt(0)
	v_add_f32_e32 v3, v3, v6
	v_add_co_u32 v0, vcc_lo, s6, v0
	v_add_co_ci_u32_e64 v1, null, s7, v1, vcc_lo
	global_load_dword v2, v[0:1], off
	s_waitcnt vmcnt(0)
	v_mul_f32_e32 v2, s12, v2
	v_fmac_f32_e32 v2, s2, v3
	global_store_dword v[0:1], v2, off
.LBB8_20:
	s_endpgm
	.section	.rodata,"a",@progbits
	.p2align	6, 0x0
	.amdhsa_kernel _ZN9rocsparseL19sbsrxmvn_5x5_kernelILj256EL20rocsparse_direction_1EliEEvT2_NS_24const_host_device_scalarIfEES2_PKS2_PKT1_S9_S6_PKfSB_S4_Pf21rocsparse_index_base_b
		.amdhsa_group_segment_fixed_size 0
		.amdhsa_private_segment_fixed_size 0
		.amdhsa_kernarg_size 352
		.amdhsa_user_sgpr_count 6
		.amdhsa_user_sgpr_private_segment_buffer 1
		.amdhsa_user_sgpr_dispatch_ptr 0
		.amdhsa_user_sgpr_queue_ptr 0
		.amdhsa_user_sgpr_kernarg_segment_ptr 1
		.amdhsa_user_sgpr_dispatch_id 0
		.amdhsa_user_sgpr_flat_scratch_init 0
		.amdhsa_user_sgpr_private_segment_size 0
		.amdhsa_wavefront_size32 1
		.amdhsa_uses_dynamic_stack 0
		.amdhsa_system_sgpr_private_segment_wavefront_offset 0
		.amdhsa_system_sgpr_workgroup_id_x 1
		.amdhsa_system_sgpr_workgroup_id_y 0
		.amdhsa_system_sgpr_workgroup_id_z 0
		.amdhsa_system_sgpr_workgroup_info 0
		.amdhsa_system_vgpr_workitem_id 1
		.amdhsa_next_free_vgpr 25
		.amdhsa_next_free_sgpr 16
		.amdhsa_reserve_vcc 1
		.amdhsa_reserve_flat_scratch 0
		.amdhsa_float_round_mode_32 0
		.amdhsa_float_round_mode_16_64 0
		.amdhsa_float_denorm_mode_32 3
		.amdhsa_float_denorm_mode_16_64 3
		.amdhsa_dx10_clamp 1
		.amdhsa_ieee_mode 1
		.amdhsa_fp16_overflow 0
		.amdhsa_workgroup_processor_mode 1
		.amdhsa_memory_ordered 1
		.amdhsa_forward_progress 1
		.amdhsa_shared_vgpr_count 0
		.amdhsa_exception_fp_ieee_invalid_op 0
		.amdhsa_exception_fp_denorm_src 0
		.amdhsa_exception_fp_ieee_div_zero 0
		.amdhsa_exception_fp_ieee_overflow 0
		.amdhsa_exception_fp_ieee_underflow 0
		.amdhsa_exception_fp_ieee_inexact 0
		.amdhsa_exception_int_div_zero 0
	.end_amdhsa_kernel
	.section	.text._ZN9rocsparseL19sbsrxmvn_5x5_kernelILj256EL20rocsparse_direction_1EliEEvT2_NS_24const_host_device_scalarIfEES2_PKS2_PKT1_S9_S6_PKfSB_S4_Pf21rocsparse_index_base_b,"axG",@progbits,_ZN9rocsparseL19sbsrxmvn_5x5_kernelILj256EL20rocsparse_direction_1EliEEvT2_NS_24const_host_device_scalarIfEES2_PKS2_PKT1_S9_S6_PKfSB_S4_Pf21rocsparse_index_base_b,comdat
.Lfunc_end8:
	.size	_ZN9rocsparseL19sbsrxmvn_5x5_kernelILj256EL20rocsparse_direction_1EliEEvT2_NS_24const_host_device_scalarIfEES2_PKS2_PKT1_S9_S6_PKfSB_S4_Pf21rocsparse_index_base_b, .Lfunc_end8-_ZN9rocsparseL19sbsrxmvn_5x5_kernelILj256EL20rocsparse_direction_1EliEEvT2_NS_24const_host_device_scalarIfEES2_PKS2_PKT1_S9_S6_PKfSB_S4_Pf21rocsparse_index_base_b
                                        ; -- End function
	.set _ZN9rocsparseL19sbsrxmvn_5x5_kernelILj256EL20rocsparse_direction_1EliEEvT2_NS_24const_host_device_scalarIfEES2_PKS2_PKT1_S9_S6_PKfSB_S4_Pf21rocsparse_index_base_b.num_vgpr, 25
	.set _ZN9rocsparseL19sbsrxmvn_5x5_kernelILj256EL20rocsparse_direction_1EliEEvT2_NS_24const_host_device_scalarIfEES2_PKS2_PKT1_S9_S6_PKfSB_S4_Pf21rocsparse_index_base_b.num_agpr, 0
	.set _ZN9rocsparseL19sbsrxmvn_5x5_kernelILj256EL20rocsparse_direction_1EliEEvT2_NS_24const_host_device_scalarIfEES2_PKS2_PKT1_S9_S6_PKfSB_S4_Pf21rocsparse_index_base_b.numbered_sgpr, 16
	.set _ZN9rocsparseL19sbsrxmvn_5x5_kernelILj256EL20rocsparse_direction_1EliEEvT2_NS_24const_host_device_scalarIfEES2_PKS2_PKT1_S9_S6_PKfSB_S4_Pf21rocsparse_index_base_b.num_named_barrier, 0
	.set _ZN9rocsparseL19sbsrxmvn_5x5_kernelILj256EL20rocsparse_direction_1EliEEvT2_NS_24const_host_device_scalarIfEES2_PKS2_PKT1_S9_S6_PKfSB_S4_Pf21rocsparse_index_base_b.private_seg_size, 0
	.set _ZN9rocsparseL19sbsrxmvn_5x5_kernelILj256EL20rocsparse_direction_1EliEEvT2_NS_24const_host_device_scalarIfEES2_PKS2_PKT1_S9_S6_PKfSB_S4_Pf21rocsparse_index_base_b.uses_vcc, 1
	.set _ZN9rocsparseL19sbsrxmvn_5x5_kernelILj256EL20rocsparse_direction_1EliEEvT2_NS_24const_host_device_scalarIfEES2_PKS2_PKT1_S9_S6_PKfSB_S4_Pf21rocsparse_index_base_b.uses_flat_scratch, 0
	.set _ZN9rocsparseL19sbsrxmvn_5x5_kernelILj256EL20rocsparse_direction_1EliEEvT2_NS_24const_host_device_scalarIfEES2_PKS2_PKT1_S9_S6_PKfSB_S4_Pf21rocsparse_index_base_b.has_dyn_sized_stack, 0
	.set _ZN9rocsparseL19sbsrxmvn_5x5_kernelILj256EL20rocsparse_direction_1EliEEvT2_NS_24const_host_device_scalarIfEES2_PKS2_PKT1_S9_S6_PKfSB_S4_Pf21rocsparse_index_base_b.has_recursion, 0
	.set _ZN9rocsparseL19sbsrxmvn_5x5_kernelILj256EL20rocsparse_direction_1EliEEvT2_NS_24const_host_device_scalarIfEES2_PKS2_PKT1_S9_S6_PKfSB_S4_Pf21rocsparse_index_base_b.has_indirect_call, 0
	.section	.AMDGPU.csdata,"",@progbits
; Kernel info:
; codeLenInByte = 1452
; TotalNumSgprs: 18
; NumVgprs: 25
; ScratchSize: 0
; MemoryBound: 0
; FloatMode: 240
; IeeeMode: 1
; LDSByteSize: 0 bytes/workgroup (compile time only)
; SGPRBlocks: 0
; VGPRBlocks: 3
; NumSGPRsForWavesPerEU: 18
; NumVGPRsForWavesPerEU: 25
; Occupancy: 16
; WaveLimiterHint : 1
; COMPUTE_PGM_RSRC2:SCRATCH_EN: 0
; COMPUTE_PGM_RSRC2:USER_SGPR: 6
; COMPUTE_PGM_RSRC2:TRAP_HANDLER: 0
; COMPUTE_PGM_RSRC2:TGID_X_EN: 1
; COMPUTE_PGM_RSRC2:TGID_Y_EN: 0
; COMPUTE_PGM_RSRC2:TGID_Z_EN: 0
; COMPUTE_PGM_RSRC2:TIDIG_COMP_CNT: 1
	.section	.text._ZN9rocsparseL18bsrxmvn_5x5_kernelILj50EdlidddEEvT2_20rocsparse_direction_NS_24const_host_device_scalarIT0_EES1_PKS1_PKT1_SA_S7_PKT3_PKT4_S5_PT5_21rocsparse_index_base_b,"axG",@progbits,_ZN9rocsparseL18bsrxmvn_5x5_kernelILj50EdlidddEEvT2_20rocsparse_direction_NS_24const_host_device_scalarIT0_EES1_PKS1_PKT1_SA_S7_PKT3_PKT4_S5_PT5_21rocsparse_index_base_b,comdat
	.globl	_ZN9rocsparseL18bsrxmvn_5x5_kernelILj50EdlidddEEvT2_20rocsparse_direction_NS_24const_host_device_scalarIT0_EES1_PKS1_PKT1_SA_S7_PKT3_PKT4_S5_PT5_21rocsparse_index_base_b ; -- Begin function _ZN9rocsparseL18bsrxmvn_5x5_kernelILj50EdlidddEEvT2_20rocsparse_direction_NS_24const_host_device_scalarIT0_EES1_PKS1_PKT1_SA_S7_PKT3_PKT4_S5_PT5_21rocsparse_index_base_b
	.p2align	8
	.type	_ZN9rocsparseL18bsrxmvn_5x5_kernelILj50EdlidddEEvT2_20rocsparse_direction_NS_24const_host_device_scalarIT0_EES1_PKS1_PKT1_SA_S7_PKT3_PKT4_S5_PT5_21rocsparse_index_base_b,@function
_ZN9rocsparseL18bsrxmvn_5x5_kernelILj50EdlidddEEvT2_20rocsparse_direction_NS_24const_host_device_scalarIT0_EES1_PKS1_PKT1_SA_S7_PKT3_PKT4_S5_PT5_21rocsparse_index_base_b: ; @_ZN9rocsparseL18bsrxmvn_5x5_kernelILj50EdlidddEEvT2_20rocsparse_direction_NS_24const_host_device_scalarIT0_EES1_PKS1_PKT1_SA_S7_PKT3_PKT4_S5_PT5_21rocsparse_index_base_b
; %bb.0:
	s_clause 0x2
	s_load_dwordx2 s[8:9], s[4:5], 0x58
	s_load_dwordx2 s[2:3], s[4:5], 0x8
	;; [unrolled: 1-line block ×3, first 2 shown]
	s_waitcnt lgkmcnt(0)
	s_bitcmp1_b32 s9, 0
	v_mov_b32_e32 v4, s3
	v_mov_b32_e32 v3, s2
	s_cselect_b32 s7, -1, 0
	s_and_b32 vcc_lo, exec_lo, s7
	s_xor_b32 s7, s7, -1
	s_cbranch_vccnz .LBB9_2
; %bb.1:
	v_mov_b32_e32 v1, s2
	v_mov_b32_e32 v2, s3
	flat_load_dwordx2 v[3:4], v[1:2]
.LBB9_2:
	v_mov_b32_e32 v2, s1
	v_mov_b32_e32 v1, s0
	s_andn2_b32 vcc_lo, exec_lo, s7
	s_cbranch_vccnz .LBB9_4
; %bb.3:
	v_mov_b32_e32 v2, s1
	v_mov_b32_e32 v1, s0
	flat_load_dwordx2 v[1:2], v[1:2]
.LBB9_4:
	s_waitcnt vmcnt(0) lgkmcnt(0)
	v_cmp_neq_f64_e32 vcc_lo, 0, v[3:4]
	v_cmp_neq_f64_e64 s0, 1.0, v[1:2]
	s_or_b32 s0, vcc_lo, s0
	s_and_saveexec_b32 s1, s0
	s_cbranch_execz .LBB9_37
; %bb.5:
	s_clause 0x1
	s_load_dwordx4 s[0:3], s[4:5], 0x18
	s_load_dwordx2 s[10:11], s[4:5], 0x28
	s_waitcnt lgkmcnt(0)
	s_cmp_eq_u64 s[0:1], 0
	s_cbranch_scc1 .LBB9_7
; %bb.6:
	s_ashr_i32 s7, s6, 31
	s_lshl_b64 s[6:7], s[6:7], 2
	s_add_u32 s0, s0, s6
	s_addc_u32 s1, s1, s7
	s_load_dword s0, s[0:1], 0x0
	s_waitcnt lgkmcnt(0)
	s_sub_i32 s6, s0, s8
.LBB9_7:
	s_load_dword s1, s[4:5], 0x4
	v_mul_u32_u24_e32 v5, 0x3334, v0
	v_mov_b32_e32 v6, 0
	v_mov_b32_e32 v7, 0
	v_lshrrev_b32_e32 v8, 16, v5
	v_mul_lo_u16 v5, v8, 5
	v_sub_nc_u16 v13, v0, v5
	v_lshlrev_b32_e32 v5, 3, v0
	s_waitcnt lgkmcnt(0)
	s_cmp_eq_u32 s1, 1
	s_cselect_b32 s0, -1, 0
	s_cmp_lg_u32 s1, 1
	s_cselect_b32 s9, -1, 0
	s_ashr_i32 s7, s6, 31
	s_lshl_b64 s[12:13], s[6:7], 3
	s_add_u32 s2, s2, s12
	s_addc_u32 s3, s3, s13
	s_add_u32 s1, s2, 8
	s_addc_u32 s7, s3, 0
	;; [unrolled: 2-line block ×3, first 2 shown]
	s_cmp_eq_u64 s[10:11], 0
	s_cselect_b32 s11, s7, s13
	s_cselect_b32 s10, s1, s12
	s_load_dwordx2 s[12:13], s[2:3], 0x0
	s_load_dwordx2 s[10:11], s[10:11], 0x0
	s_load_dwordx2 s[2:3], s[4:5], 0x50
	s_waitcnt lgkmcnt(0)
	v_cmp_ge_i64_e64 s1, s[12:13], s[10:11]
	s_and_b32 vcc_lo, exec_lo, s1
	s_cbranch_vccnz .LBB9_12
; %bb.8:
	v_mul_lo_u16 v6, v8, 52
	v_mov_b32_e32 v9, 0xa3e
	s_clause 0x1
	s_load_dwordx4 s[16:19], s[4:5], 0x30
	s_load_dwordx2 s[4:5], s[4:5], 0x40
	v_and_b32_e32 v11, 0xffff, v13
	s_mul_i32 s7, s8, 0xc8
	v_lshrrev_b16 v7, 8, v6
	v_mul_u32_u24_sdwa v9, v0, v9 dst_sel:DWORD dst_unused:UNUSED_PAD src0_sel:WORD_0 src1_sel:DWORD
	v_mov_b32_e32 v6, 0
	s_mul_hi_u32 s1, s8, 0xc8
	s_sub_u32 s10, s10, s8
	v_mul_lo_u16 v10, v7, 5
	v_lshrrev_b32_e32 v14, 16, v9
	v_mad_u64_u32 v[6:7], null, 0xc8, s12, v[5:6]
	s_subb_u32 s11, s11, 0
	v_sub_nc_u16 v8, v8, v10
	v_add_co_u32 v10, s14, s12, v14
	v_add_co_ci_u32_e64 v12, null, s13, 0, s14
	v_and_b32_e32 v9, 0xff, v8
	v_mad_u64_u32 v[7:8], null, 0xc8, s13, v[7:8]
	v_cndmask_b32_e64 v8, v11, v9, s0
	v_sub_co_u32 v9, vcc_lo, v10, s8
	v_subrev_co_ci_u32_e64 v10, null, 0, v12, vcc_lo
	v_sub_co_u32 v6, vcc_lo, v6, s7
	v_subrev_co_ci_u32_e64 v7, null, s1, v7, vcc_lo
	v_lshlrev_b64 v[11:12], 2, v[9:10]
	s_waitcnt lgkmcnt(0)
	v_add_co_u32 v9, vcc_lo, s18, v6
	v_add_co_ci_u32_e64 v10, null, s19, v7, vcc_lo
	v_mov_b32_e32 v6, 0
	v_add_co_u32 v11, vcc_lo, s16, v11
	v_mov_b32_e32 v7, 0
	v_add_co_ci_u32_e64 v12, null, s17, v12, vcc_lo
	s_sub_u32 s0, s12, s8
	s_subb_u32 s1, s13, 0
	s_inst_prefetch 0x1
	s_branch .LBB9_10
	.p2align	6
.LBB9_9:                                ;   in Loop: Header=BB9_10 Depth=1
	s_or_b32 exec_lo, exec_lo, s7
	s_add_u32 s0, s0, 2
	s_addc_u32 s1, s1, 0
	v_add_co_u32 v9, vcc_lo, 0x190, v9
	v_cmp_ge_i64_e64 s7, s[0:1], s[10:11]
	v_add_co_ci_u32_e64 v10, null, 0, v10, vcc_lo
	v_add_co_u32 v11, vcc_lo, v11, 8
	v_add_co_ci_u32_e64 v12, null, 0, v12, vcc_lo
	s_and_b32 vcc_lo, exec_lo, s7
	s_cbranch_vccnz .LBB9_12
.LBB9_10:                               ; =>This Inner Loop Header: Depth=1
	v_add_co_u32 v15, s7, v14, s0
	v_add_co_ci_u32_e64 v16, null, 0, s1, s7
	s_mov_b32 s7, exec_lo
	v_cmpx_gt_i64_e64 s[10:11], v[15:16]
	s_cbranch_execz .LBB9_9
; %bb.11:                               ;   in Loop: Header=BB9_10 Depth=1
	global_load_dword v15, v[11:12], off
	s_waitcnt vmcnt(0)
	v_subrev_nc_u32_e32 v15, s8, v15
	v_mad_u64_u32 v[15:16], null, v15, 5, v[8:9]
	v_ashrrev_i32_e32 v16, 31, v15
	v_lshlrev_b64 v[15:16], 3, v[15:16]
	v_add_co_u32 v15, vcc_lo, s4, v15
	v_add_co_ci_u32_e64 v16, null, s5, v16, vcc_lo
	global_load_dwordx2 v[17:18], v[9:10], off
	global_load_dwordx2 v[15:16], v[15:16], off
	s_waitcnt vmcnt(0)
	v_fma_f64 v[6:7], v[17:18], v[15:16], v[6:7]
	s_branch .LBB9_9
.LBB9_12:
	s_inst_prefetch 0x2
	s_and_b32 vcc_lo, exec_lo, s9
	ds_write_b64 v5, v[6:7]
	s_waitcnt lgkmcnt(0)
	buffer_gl0_inv
	s_cbranch_vccz .LBB9_22
; %bb.13:
	s_mov_b32 s0, exec_lo
	v_cmpx_gt_u32_e32 25, v0
	s_cbranch_execz .LBB9_15
; %bb.14:
	ds_read2_b64 v[8:11], v5 offset1:25
	s_waitcnt lgkmcnt(0)
	v_add_f64 v[8:9], v[10:11], v[8:9]
	ds_write_b64 v5, v[8:9]
.LBB9_15:
	s_or_b32 exec_lo, exec_lo, s0
	s_mov_b32 s0, exec_lo
	s_waitcnt lgkmcnt(0)
	buffer_gl0_inv
	v_cmpx_eq_u16_e32 0, v13
	s_cbranch_execz .LBB9_17
; %bb.16:
	ds_read2_b64 v[8:11], v5 offset1:4
	s_waitcnt lgkmcnt(0)
	v_add_f64 v[8:9], v[10:11], v[8:9]
	ds_write_b64 v5, v[8:9]
.LBB9_17:
	s_or_b32 exec_lo, exec_lo, s0
	s_mov_b32 s0, exec_lo
	s_waitcnt lgkmcnt(0)
	buffer_gl0_inv
	v_cmpx_gt_u16_e32 2, v13
	s_cbranch_execz .LBB9_19
; %bb.18:
	ds_read2_b64 v[8:11], v5 offset1:2
	s_waitcnt lgkmcnt(0)
	v_add_f64 v[8:9], v[10:11], v[8:9]
	ds_write_b64 v5, v[8:9]
.LBB9_19:
	s_or_b32 exec_lo, exec_lo, s0
	v_mov_b32_e32 v9, v7
	v_mov_b32_e32 v8, v6
	s_mov_b32 s0, exec_lo
	s_waitcnt lgkmcnt(0)
	buffer_gl0_inv
	v_cmpx_gt_u32_e32 5, v0
	s_cbranch_execz .LBB9_21
; %bb.20:
	v_lshl_add_u32 v8, v0, 5, v5
	ds_read2_b64 v[8:11], v8 offset1:1
	s_waitcnt lgkmcnt(0)
	v_add_f64 v[8:9], v[8:9], v[10:11]
.LBB9_21:
	s_or_b32 exec_lo, exec_lo, s0
	s_branch .LBB9_32
.LBB9_22:
                                        ; implicit-def: $vgpr8_vgpr9
	s_cbranch_execz .LBB9_32
; %bb.23:
	v_cmp_gt_u32_e32 vcc_lo, 10, v0
	s_and_saveexec_b32 s0, vcc_lo
	s_cbranch_execz .LBB9_25
; %bb.24:
	ds_read2_b64 v[8:11], v5 offset1:40
	s_waitcnt lgkmcnt(0)
	v_add_f64 v[8:9], v[10:11], v[8:9]
	ds_write_b64 v5, v[8:9]
.LBB9_25:
	s_or_b32 exec_lo, exec_lo, s0
	s_mov_b32 s1, exec_lo
	s_waitcnt lgkmcnt(0)
	buffer_gl0_inv
	v_cmpx_gt_u32_e32 20, v0
	s_cbranch_execz .LBB9_27
; %bb.26:
	ds_read2_b64 v[8:11], v5 offset1:20
	s_waitcnt lgkmcnt(0)
	v_add_f64 v[8:9], v[10:11], v[8:9]
	ds_write_b64 v5, v[8:9]
.LBB9_27:
	s_or_b32 exec_lo, exec_lo, s1
	s_waitcnt lgkmcnt(0)
	buffer_gl0_inv
	s_and_saveexec_b32 s0, vcc_lo
	s_cbranch_execz .LBB9_29
; %bb.28:
	ds_read2_b64 v[8:11], v5 offset1:10
	s_waitcnt lgkmcnt(0)
	v_add_f64 v[8:9], v[10:11], v[8:9]
	ds_write_b64 v5, v[8:9]
.LBB9_29:
	s_or_b32 exec_lo, exec_lo, s0
	s_mov_b32 s0, exec_lo
	s_waitcnt lgkmcnt(0)
	buffer_gl0_inv
	v_cmpx_gt_u32_e32 5, v0
	s_cbranch_execz .LBB9_31
; %bb.30:
	ds_read2_b64 v[5:8], v5 offset1:5
	s_waitcnt lgkmcnt(0)
	v_add_f64 v[6:7], v[5:6], v[7:8]
.LBB9_31:
	s_or_b32 exec_lo, exec_lo, s0
	v_mov_b32_e32 v9, v7
	v_mov_b32_e32 v8, v6
.LBB9_32:
	v_cmp_gt_u32_e32 vcc_lo, 5, v0
	s_and_b32 exec_lo, exec_lo, vcc_lo
	s_cbranch_execz .LBB9_37
; %bb.33:
	v_mul_f64 v[3:4], v[3:4], v[8:9]
	s_mov_b32 s0, exec_lo
	v_cmpx_eq_f64_e32 0, v[1:2]
	s_xor_b32 s0, exec_lo, s0
	s_cbranch_execz .LBB9_35
; %bb.34:
	v_mad_u64_u32 v[0:1], null, s6, 5, v[0:1]
	v_mov_b32_e32 v1, 0
	v_lshlrev_b64 v[0:1], 3, v[0:1]
	v_add_co_u32 v0, vcc_lo, s2, v0
	v_add_co_ci_u32_e64 v1, null, s3, v1, vcc_lo
	global_store_dwordx2 v[0:1], v[3:4], off
                                        ; implicit-def: $vgpr0
                                        ; implicit-def: $vgpr1_vgpr2
                                        ; implicit-def: $vgpr3_vgpr4
.LBB9_35:
	s_andn2_saveexec_b32 s0, s0
	s_cbranch_execz .LBB9_37
; %bb.36:
	v_mad_u64_u32 v[5:6], null, s6, 5, v[0:1]
	v_mov_b32_e32 v6, 0
	v_lshlrev_b64 v[5:6], 3, v[5:6]
	v_add_co_u32 v5, vcc_lo, s2, v5
	v_add_co_ci_u32_e64 v6, null, s3, v6, vcc_lo
	global_load_dwordx2 v[7:8], v[5:6], off
	s_waitcnt vmcnt(0)
	v_fma_f64 v[0:1], v[1:2], v[7:8], v[3:4]
	global_store_dwordx2 v[5:6], v[0:1], off
.LBB9_37:
	s_endpgm
	.section	.rodata,"a",@progbits
	.p2align	6, 0x0
	.amdhsa_kernel _ZN9rocsparseL18bsrxmvn_5x5_kernelILj50EdlidddEEvT2_20rocsparse_direction_NS_24const_host_device_scalarIT0_EES1_PKS1_PKT1_SA_S7_PKT3_PKT4_S5_PT5_21rocsparse_index_base_b
		.amdhsa_group_segment_fixed_size 400
		.amdhsa_private_segment_fixed_size 0
		.amdhsa_kernarg_size 96
		.amdhsa_user_sgpr_count 6
		.amdhsa_user_sgpr_private_segment_buffer 1
		.amdhsa_user_sgpr_dispatch_ptr 0
		.amdhsa_user_sgpr_queue_ptr 0
		.amdhsa_user_sgpr_kernarg_segment_ptr 1
		.amdhsa_user_sgpr_dispatch_id 0
		.amdhsa_user_sgpr_flat_scratch_init 0
		.amdhsa_user_sgpr_private_segment_size 0
		.amdhsa_wavefront_size32 1
		.amdhsa_uses_dynamic_stack 0
		.amdhsa_system_sgpr_private_segment_wavefront_offset 0
		.amdhsa_system_sgpr_workgroup_id_x 1
		.amdhsa_system_sgpr_workgroup_id_y 0
		.amdhsa_system_sgpr_workgroup_id_z 0
		.amdhsa_system_sgpr_workgroup_info 0
		.amdhsa_system_vgpr_workitem_id 0
		.amdhsa_next_free_vgpr 19
		.amdhsa_next_free_sgpr 20
		.amdhsa_reserve_vcc 1
		.amdhsa_reserve_flat_scratch 0
		.amdhsa_float_round_mode_32 0
		.amdhsa_float_round_mode_16_64 0
		.amdhsa_float_denorm_mode_32 3
		.amdhsa_float_denorm_mode_16_64 3
		.amdhsa_dx10_clamp 1
		.amdhsa_ieee_mode 1
		.amdhsa_fp16_overflow 0
		.amdhsa_workgroup_processor_mode 1
		.amdhsa_memory_ordered 1
		.amdhsa_forward_progress 1
		.amdhsa_shared_vgpr_count 0
		.amdhsa_exception_fp_ieee_invalid_op 0
		.amdhsa_exception_fp_denorm_src 0
		.amdhsa_exception_fp_ieee_div_zero 0
		.amdhsa_exception_fp_ieee_overflow 0
		.amdhsa_exception_fp_ieee_underflow 0
		.amdhsa_exception_fp_ieee_inexact 0
		.amdhsa_exception_int_div_zero 0
	.end_amdhsa_kernel
	.section	.text._ZN9rocsparseL18bsrxmvn_5x5_kernelILj50EdlidddEEvT2_20rocsparse_direction_NS_24const_host_device_scalarIT0_EES1_PKS1_PKT1_SA_S7_PKT3_PKT4_S5_PT5_21rocsparse_index_base_b,"axG",@progbits,_ZN9rocsparseL18bsrxmvn_5x5_kernelILj50EdlidddEEvT2_20rocsparse_direction_NS_24const_host_device_scalarIT0_EES1_PKS1_PKT1_SA_S7_PKT3_PKT4_S5_PT5_21rocsparse_index_base_b,comdat
.Lfunc_end9:
	.size	_ZN9rocsparseL18bsrxmvn_5x5_kernelILj50EdlidddEEvT2_20rocsparse_direction_NS_24const_host_device_scalarIT0_EES1_PKS1_PKT1_SA_S7_PKT3_PKT4_S5_PT5_21rocsparse_index_base_b, .Lfunc_end9-_ZN9rocsparseL18bsrxmvn_5x5_kernelILj50EdlidddEEvT2_20rocsparse_direction_NS_24const_host_device_scalarIT0_EES1_PKS1_PKT1_SA_S7_PKT3_PKT4_S5_PT5_21rocsparse_index_base_b
                                        ; -- End function
	.set _ZN9rocsparseL18bsrxmvn_5x5_kernelILj50EdlidddEEvT2_20rocsparse_direction_NS_24const_host_device_scalarIT0_EES1_PKS1_PKT1_SA_S7_PKT3_PKT4_S5_PT5_21rocsparse_index_base_b.num_vgpr, 19
	.set _ZN9rocsparseL18bsrxmvn_5x5_kernelILj50EdlidddEEvT2_20rocsparse_direction_NS_24const_host_device_scalarIT0_EES1_PKS1_PKT1_SA_S7_PKT3_PKT4_S5_PT5_21rocsparse_index_base_b.num_agpr, 0
	.set _ZN9rocsparseL18bsrxmvn_5x5_kernelILj50EdlidddEEvT2_20rocsparse_direction_NS_24const_host_device_scalarIT0_EES1_PKS1_PKT1_SA_S7_PKT3_PKT4_S5_PT5_21rocsparse_index_base_b.numbered_sgpr, 20
	.set _ZN9rocsparseL18bsrxmvn_5x5_kernelILj50EdlidddEEvT2_20rocsparse_direction_NS_24const_host_device_scalarIT0_EES1_PKS1_PKT1_SA_S7_PKT3_PKT4_S5_PT5_21rocsparse_index_base_b.num_named_barrier, 0
	.set _ZN9rocsparseL18bsrxmvn_5x5_kernelILj50EdlidddEEvT2_20rocsparse_direction_NS_24const_host_device_scalarIT0_EES1_PKS1_PKT1_SA_S7_PKT3_PKT4_S5_PT5_21rocsparse_index_base_b.private_seg_size, 0
	.set _ZN9rocsparseL18bsrxmvn_5x5_kernelILj50EdlidddEEvT2_20rocsparse_direction_NS_24const_host_device_scalarIT0_EES1_PKS1_PKT1_SA_S7_PKT3_PKT4_S5_PT5_21rocsparse_index_base_b.uses_vcc, 1
	.set _ZN9rocsparseL18bsrxmvn_5x5_kernelILj50EdlidddEEvT2_20rocsparse_direction_NS_24const_host_device_scalarIT0_EES1_PKS1_PKT1_SA_S7_PKT3_PKT4_S5_PT5_21rocsparse_index_base_b.uses_flat_scratch, 0
	.set _ZN9rocsparseL18bsrxmvn_5x5_kernelILj50EdlidddEEvT2_20rocsparse_direction_NS_24const_host_device_scalarIT0_EES1_PKS1_PKT1_SA_S7_PKT3_PKT4_S5_PT5_21rocsparse_index_base_b.has_dyn_sized_stack, 0
	.set _ZN9rocsparseL18bsrxmvn_5x5_kernelILj50EdlidddEEvT2_20rocsparse_direction_NS_24const_host_device_scalarIT0_EES1_PKS1_PKT1_SA_S7_PKT3_PKT4_S5_PT5_21rocsparse_index_base_b.has_recursion, 0
	.set _ZN9rocsparseL18bsrxmvn_5x5_kernelILj50EdlidddEEvT2_20rocsparse_direction_NS_24const_host_device_scalarIT0_EES1_PKS1_PKT1_SA_S7_PKT3_PKT4_S5_PT5_21rocsparse_index_base_b.has_indirect_call, 0
	.section	.AMDGPU.csdata,"",@progbits
; Kernel info:
; codeLenInByte = 1444
; TotalNumSgprs: 22
; NumVgprs: 19
; ScratchSize: 0
; MemoryBound: 0
; FloatMode: 240
; IeeeMode: 1
; LDSByteSize: 400 bytes/workgroup (compile time only)
; SGPRBlocks: 0
; VGPRBlocks: 2
; NumSGPRsForWavesPerEU: 22
; NumVGPRsForWavesPerEU: 19
; Occupancy: 16
; WaveLimiterHint : 1
; COMPUTE_PGM_RSRC2:SCRATCH_EN: 0
; COMPUTE_PGM_RSRC2:USER_SGPR: 6
; COMPUTE_PGM_RSRC2:TRAP_HANDLER: 0
; COMPUTE_PGM_RSRC2:TGID_X_EN: 1
; COMPUTE_PGM_RSRC2:TGID_Y_EN: 0
; COMPUTE_PGM_RSRC2:TGID_Z_EN: 0
; COMPUTE_PGM_RSRC2:TIDIG_COMP_CNT: 0
	.section	.text._ZN9rocsparseL18bsrxmvn_5x5_kernelILj50E21rocsparse_complex_numIfEliS2_S2_S2_EEvT2_20rocsparse_direction_NS_24const_host_device_scalarIT0_EES3_PKS3_PKT1_SC_S9_PKT3_PKT4_S7_PT5_21rocsparse_index_base_b,"axG",@progbits,_ZN9rocsparseL18bsrxmvn_5x5_kernelILj50E21rocsparse_complex_numIfEliS2_S2_S2_EEvT2_20rocsparse_direction_NS_24const_host_device_scalarIT0_EES3_PKS3_PKT1_SC_S9_PKT3_PKT4_S7_PT5_21rocsparse_index_base_b,comdat
	.globl	_ZN9rocsparseL18bsrxmvn_5x5_kernelILj50E21rocsparse_complex_numIfEliS2_S2_S2_EEvT2_20rocsparse_direction_NS_24const_host_device_scalarIT0_EES3_PKS3_PKT1_SC_S9_PKT3_PKT4_S7_PT5_21rocsparse_index_base_b ; -- Begin function _ZN9rocsparseL18bsrxmvn_5x5_kernelILj50E21rocsparse_complex_numIfEliS2_S2_S2_EEvT2_20rocsparse_direction_NS_24const_host_device_scalarIT0_EES3_PKS3_PKT1_SC_S9_PKT3_PKT4_S7_PT5_21rocsparse_index_base_b
	.p2align	8
	.type	_ZN9rocsparseL18bsrxmvn_5x5_kernelILj50E21rocsparse_complex_numIfEliS2_S2_S2_EEvT2_20rocsparse_direction_NS_24const_host_device_scalarIT0_EES3_PKS3_PKT1_SC_S9_PKT3_PKT4_S7_PT5_21rocsparse_index_base_b,@function
_ZN9rocsparseL18bsrxmvn_5x5_kernelILj50E21rocsparse_complex_numIfEliS2_S2_S2_EEvT2_20rocsparse_direction_NS_24const_host_device_scalarIT0_EES3_PKS3_PKT1_SC_S9_PKT3_PKT4_S7_PT5_21rocsparse_index_base_b: ; @_ZN9rocsparseL18bsrxmvn_5x5_kernelILj50E21rocsparse_complex_numIfEliS2_S2_S2_EEvT2_20rocsparse_direction_NS_24const_host_device_scalarIT0_EES3_PKS3_PKT1_SC_S9_PKT3_PKT4_S7_PT5_21rocsparse_index_base_b
; %bb.0:
	s_clause 0x2
	s_load_dwordx2 s[8:9], s[4:5], 0x58
	s_load_dwordx2 s[0:1], s[4:5], 0x8
	;; [unrolled: 1-line block ×3, first 2 shown]
	s_add_u32 s7, s4, 8
	s_addc_u32 s10, s5, 0
	s_add_u32 s11, s4, 0x48
	s_addc_u32 s12, s5, 0
	s_waitcnt lgkmcnt(0)
	s_bitcmp1_b32 s9, 0
	s_cselect_b32 s0, s7, s0
	s_cselect_b32 s1, s10, s1
	v_mov_b32_e32 v1, s0
	v_mov_b32_e32 v2, s1
	s_cselect_b32 s0, s11, s2
	s_cselect_b32 s1, s12, s3
	flat_load_dwordx2 v[3:4], v[1:2]
	v_mov_b32_e32 v1, s0
	v_mov_b32_e32 v2, s1
	flat_load_dwordx2 v[1:2], v[1:2]
	s_waitcnt vmcnt(1) lgkmcnt(1)
	v_cmp_eq_f32_e32 vcc_lo, 0, v3
	v_cmp_eq_f32_e64 s0, 0, v4
	s_and_b32 s2, vcc_lo, s0
	s_mov_b32 s0, -1
	s_and_saveexec_b32 s1, s2
	s_cbranch_execz .LBB10_2
; %bb.1:
	s_waitcnt vmcnt(0) lgkmcnt(0)
	v_cmp_neq_f32_e32 vcc_lo, 1.0, v1
	v_cmp_neq_f32_e64 s0, 0, v2
	s_or_b32 s0, vcc_lo, s0
	s_orn2_b32 s0, s0, exec_lo
.LBB10_2:
	s_or_b32 exec_lo, exec_lo, s1
	s_and_saveexec_b32 s1, s0
	s_cbranch_execz .LBB10_35
; %bb.3:
	s_clause 0x1
	s_load_dwordx4 s[0:3], s[4:5], 0x18
	s_load_dwordx2 s[10:11], s[4:5], 0x28
	s_waitcnt lgkmcnt(0)
	s_cmp_eq_u64 s[0:1], 0
	s_cbranch_scc1 .LBB10_5
; %bb.4:
	s_ashr_i32 s7, s6, 31
	s_lshl_b64 s[6:7], s[6:7], 2
	s_add_u32 s0, s0, s6
	s_addc_u32 s1, s1, s7
	s_load_dword s0, s[0:1], 0x0
	s_waitcnt lgkmcnt(0)
	s_sub_i32 s6, s0, s8
.LBB10_5:
	s_load_dword s1, s[4:5], 0x4
	v_mul_u32_u24_e32 v5, 0x3334, v0
	v_mov_b32_e32 v7, 0
	v_lshrrev_b32_e32 v8, 16, v5
	v_lshlrev_b32_e32 v5, 3, v0
	v_mul_lo_u16 v6, v8, 5
	v_sub_nc_u16 v13, v0, v6
	v_mov_b32_e32 v6, 0
	s_waitcnt lgkmcnt(0)
	s_cmp_eq_u32 s1, 1
	s_cselect_b32 s0, -1, 0
	s_cmp_lg_u32 s1, 1
	s_cselect_b32 s9, -1, 0
	s_ashr_i32 s7, s6, 31
	s_lshl_b64 s[12:13], s[6:7], 3
	s_add_u32 s2, s2, s12
	s_addc_u32 s3, s3, s13
	s_add_u32 s1, s2, 8
	s_addc_u32 s7, s3, 0
	;; [unrolled: 2-line block ×3, first 2 shown]
	s_cmp_eq_u64 s[10:11], 0
	s_cselect_b32 s13, s7, s13
	s_cselect_b32 s12, s1, s12
	s_load_dwordx2 s[10:11], s[2:3], 0x0
	s_load_dwordx2 s[12:13], s[12:13], 0x0
	;; [unrolled: 1-line block ×3, first 2 shown]
	s_waitcnt lgkmcnt(0)
	v_cmp_ge_i64_e64 s1, s[10:11], s[12:13]
	s_and_b32 vcc_lo, exec_lo, s1
	s_cbranch_vccnz .LBB10_10
; %bb.6:
	v_mul_lo_u16 v7, v8, 52
	v_mov_b32_e32 v6, 0
	v_mov_b32_e32 v11, 0xa3e
	s_clause 0x1
	s_load_dwordx4 s[16:19], s[4:5], 0x30
	s_load_dwordx2 s[4:5], s[4:5], 0x40
	s_mul_i32 s1, s8, 0xc8
	v_lshrrev_b16 v7, 8, v7
	v_mad_u64_u32 v[9:10], null, 0xc8, s10, v[5:6]
	v_mul_u32_u24_sdwa v11, v0, v11 dst_sel:DWORD dst_unused:UNUSED_PAD src0_sel:WORD_0 src1_sel:DWORD
	s_mul_hi_u32 s7, s8, 0xc8
	v_mul_lo_u16 v12, v7, 5
	v_and_b32_e32 v15, 0xffff, v13
	s_sub_u32 s12, s12, s8
	v_lshrrev_b32_e32 v14, 16, v11
	v_mov_b32_e32 v7, v10
	v_sub_nc_u16 v10, v8, v12
	v_sub_co_u32 v12, vcc_lo, v9, s1
	s_subb_u32 s13, s13, 0
	v_mad_u64_u32 v[7:8], null, 0xc8, s11, v[7:8]
	v_and_b32_e32 v8, 0xff, v10
	v_add_co_u32 v10, s14, s10, v14
	v_add_co_ci_u32_e64 v11, null, s11, 0, s14
	v_or_b32_e32 v16, 4, v12
	v_sub_co_u32 v9, s1, v10, s8
	v_subrev_co_ci_u32_e64 v10, null, 0, v11, s1
	v_subrev_co_ci_u32_e64 v7, null, s7, v7, vcc_lo
	v_cndmask_b32_e64 v8, v15, v8, s0
	v_lshlrev_b64 v[11:12], 2, v[9:10]
	s_waitcnt lgkmcnt(0)
	v_add_co_u32 v9, vcc_lo, s18, v16
	v_add_co_ci_u32_e64 v10, null, s19, v7, vcc_lo
	v_mov_b32_e32 v7, v6
	v_add_co_u32 v11, vcc_lo, s16, v11
	v_add_co_ci_u32_e64 v12, null, s17, v12, vcc_lo
	s_sub_u32 s0, s10, s8
	s_subb_u32 s1, s11, 0
	s_inst_prefetch 0x1
	s_branch .LBB10_8
	.p2align	6
.LBB10_7:                               ;   in Loop: Header=BB10_8 Depth=1
	s_or_b32 exec_lo, exec_lo, s7
	s_add_u32 s0, s0, 2
	s_addc_u32 s1, s1, 0
	v_add_co_u32 v9, vcc_lo, 0x190, v9
	v_cmp_ge_i64_e64 s7, s[0:1], s[12:13]
	v_add_co_ci_u32_e64 v10, null, 0, v10, vcc_lo
	v_add_co_u32 v11, vcc_lo, v11, 8
	v_add_co_ci_u32_e64 v12, null, 0, v12, vcc_lo
	s_and_b32 vcc_lo, exec_lo, s7
	s_cbranch_vccnz .LBB10_10
.LBB10_8:                               ; =>This Inner Loop Header: Depth=1
	v_add_co_u32 v15, s7, v14, s0
	v_add_co_ci_u32_e64 v16, null, 0, s1, s7
	s_mov_b32 s7, exec_lo
	v_cmpx_gt_i64_e64 s[12:13], v[15:16]
	s_cbranch_execz .LBB10_7
; %bb.9:                                ;   in Loop: Header=BB10_8 Depth=1
	global_load_dword v15, v[11:12], off
	s_waitcnt vmcnt(0)
	v_subrev_nc_u32_e32 v15, s8, v15
	v_mad_u64_u32 v[15:16], null, v15, 5, v[8:9]
	v_ashrrev_i32_e32 v16, 31, v15
	v_lshlrev_b64 v[15:16], 3, v[15:16]
	v_add_co_u32 v15, vcc_lo, s4, v15
	v_add_co_ci_u32_e64 v16, null, s5, v16, vcc_lo
	global_load_dwordx2 v[17:18], v[9:10], off offset:-4
	global_load_dwordx2 v[15:16], v[15:16], off
	s_waitcnt vmcnt(0)
	v_fmac_f32_e32 v6, v17, v15
	v_fmac_f32_e32 v7, v18, v15
	v_fma_f32 v6, -v18, v16, v6
	v_fmac_f32_e32 v7, v17, v16
	s_branch .LBB10_7
.LBB10_10:
	s_inst_prefetch 0x2
	s_and_b32 vcc_lo, exec_lo, s9
	ds_write_b64 v5, v[6:7]
	s_waitcnt vmcnt(0) lgkmcnt(0)
	buffer_gl0_inv
	s_cbranch_vccz .LBB10_20
; %bb.11:
	s_mov_b32 s0, exec_lo
	v_cmpx_gt_u32_e32 25, v0
	s_cbranch_execz .LBB10_13
; %bb.12:
	ds_read2_b64 v[8:11], v5 offset1:25
	s_waitcnt lgkmcnt(0)
	v_add_f32_e32 v8, v10, v8
	v_add_f32_e32 v9, v11, v9
	ds_write_b64 v5, v[8:9]
.LBB10_13:
	s_or_b32 exec_lo, exec_lo, s0
	s_mov_b32 s0, exec_lo
	s_waitcnt lgkmcnt(0)
	buffer_gl0_inv
	v_cmpx_eq_u16_e32 0, v13
	s_cbranch_execz .LBB10_15
; %bb.14:
	ds_read2_b64 v[8:11], v5 offset1:4
	s_waitcnt lgkmcnt(0)
	v_add_f32_e32 v8, v10, v8
	v_add_f32_e32 v9, v11, v9
	ds_write_b64 v5, v[8:9]
.LBB10_15:
	s_or_b32 exec_lo, exec_lo, s0
	s_mov_b32 s0, exec_lo
	s_waitcnt lgkmcnt(0)
	buffer_gl0_inv
	v_cmpx_gt_u16_e32 2, v13
	s_cbranch_execz .LBB10_17
; %bb.16:
	ds_read2_b64 v[8:11], v5 offset1:2
	s_waitcnt lgkmcnt(0)
	v_add_f32_e32 v8, v10, v8
	v_add_f32_e32 v9, v11, v9
	ds_write_b64 v5, v[8:9]
.LBB10_17:
	s_or_b32 exec_lo, exec_lo, s0
	v_mov_b32_e32 v9, v7
	v_mov_b32_e32 v8, v6
	s_mov_b32 s0, exec_lo
	s_waitcnt lgkmcnt(0)
	buffer_gl0_inv
	v_cmpx_gt_u32_e32 5, v0
	s_cbranch_execz .LBB10_19
; %bb.18:
	v_lshl_add_u32 v8, v0, 5, v5
	ds_read2_b64 v[8:11], v8 offset1:1
	s_waitcnt lgkmcnt(0)
	v_add_f32_e32 v8, v10, v8
	v_add_f32_e32 v9, v11, v9
.LBB10_19:
	s_or_b32 exec_lo, exec_lo, s0
	s_branch .LBB10_30
.LBB10_20:
                                        ; implicit-def: $vgpr9
                                        ; implicit-def: $vgpr8
	s_cbranch_execz .LBB10_30
; %bb.21:
	v_cmp_gt_u32_e32 vcc_lo, 10, v0
	s_and_saveexec_b32 s0, vcc_lo
	s_cbranch_execz .LBB10_23
; %bb.22:
	ds_read2_b64 v[8:11], v5 offset1:40
	s_waitcnt lgkmcnt(0)
	v_add_f32_e32 v8, v10, v8
	v_add_f32_e32 v9, v11, v9
	ds_write_b64 v5, v[8:9]
.LBB10_23:
	s_or_b32 exec_lo, exec_lo, s0
	s_mov_b32 s1, exec_lo
	s_waitcnt lgkmcnt(0)
	buffer_gl0_inv
	v_cmpx_gt_u32_e32 20, v0
	s_cbranch_execz .LBB10_25
; %bb.24:
	ds_read2_b64 v[8:11], v5 offset1:20
	s_waitcnt lgkmcnt(0)
	v_add_f32_e32 v8, v10, v8
	v_add_f32_e32 v9, v11, v9
	ds_write_b64 v5, v[8:9]
.LBB10_25:
	s_or_b32 exec_lo, exec_lo, s1
	s_waitcnt lgkmcnt(0)
	buffer_gl0_inv
	s_and_saveexec_b32 s0, vcc_lo
	s_cbranch_execz .LBB10_27
; %bb.26:
	ds_read2_b64 v[8:11], v5 offset1:10
	s_waitcnt lgkmcnt(0)
	v_add_f32_e32 v8, v10, v8
	v_add_f32_e32 v9, v11, v9
	ds_write_b64 v5, v[8:9]
.LBB10_27:
	s_or_b32 exec_lo, exec_lo, s0
	s_mov_b32 s0, exec_lo
	s_waitcnt lgkmcnt(0)
	buffer_gl0_inv
	v_cmpx_gt_u32_e32 5, v0
	s_cbranch_execz .LBB10_29
; %bb.28:
	ds_read2_b64 v[6:9], v5 offset1:5
	s_waitcnt lgkmcnt(0)
	v_add_f32_e32 v6, v8, v6
	v_add_f32_e32 v7, v9, v7
.LBB10_29:
	s_or_b32 exec_lo, exec_lo, s0
	v_mov_b32_e32 v9, v7
	v_mov_b32_e32 v8, v6
.LBB10_30:
	v_cmp_gt_u32_e32 vcc_lo, 5, v0
	s_and_b32 exec_lo, exec_lo, vcc_lo
	s_cbranch_execz .LBB10_35
; %bb.31:
	v_mul_f32_e64 v5, v9, -v4
	v_mul_f32_e32 v6, v3, v9
	v_cmp_eq_f32_e32 vcc_lo, 0, v1
	v_cmp_eq_f32_e64 s0, 0, v2
	v_fmac_f32_e32 v5, v3, v8
	v_fmac_f32_e32 v6, v4, v8
	s_and_b32 s0, vcc_lo, s0
	s_and_saveexec_b32 s1, s0
	s_xor_b32 s0, exec_lo, s1
	s_cbranch_execz .LBB10_33
; %bb.32:
	v_mad_u64_u32 v[0:1], null, s6, 5, v[0:1]
	v_mov_b32_e32 v1, 0
	v_lshlrev_b64 v[0:1], 3, v[0:1]
	v_add_co_u32 v0, vcc_lo, s2, v0
	v_add_co_ci_u32_e64 v1, null, s3, v1, vcc_lo
	global_store_dwordx2 v[0:1], v[5:6], off
                                        ; implicit-def: $vgpr0
                                        ; implicit-def: $vgpr1_vgpr2
                                        ; implicit-def: $vgpr5
.LBB10_33:
	s_andn2_saveexec_b32 s0, s0
	s_cbranch_execz .LBB10_35
; %bb.34:
	v_mad_u64_u32 v[3:4], null, s6, 5, v[0:1]
	v_mov_b32_e32 v4, 0
	v_lshlrev_b64 v[3:4], 3, v[3:4]
	v_add_co_u32 v3, vcc_lo, s2, v3
	v_add_co_ci_u32_e64 v4, null, s3, v4, vcc_lo
	global_load_dwordx2 v[7:8], v[3:4], off
	s_waitcnt vmcnt(0)
	v_fmac_f32_e32 v5, v1, v7
	v_fmac_f32_e32 v6, v2, v7
	v_fma_f32 v5, -v2, v8, v5
	v_fmac_f32_e32 v6, v1, v8
	global_store_dwordx2 v[3:4], v[5:6], off
.LBB10_35:
	s_endpgm
	.section	.rodata,"a",@progbits
	.p2align	6, 0x0
	.amdhsa_kernel _ZN9rocsparseL18bsrxmvn_5x5_kernelILj50E21rocsparse_complex_numIfEliS2_S2_S2_EEvT2_20rocsparse_direction_NS_24const_host_device_scalarIT0_EES3_PKS3_PKT1_SC_S9_PKT3_PKT4_S7_PT5_21rocsparse_index_base_b
		.amdhsa_group_segment_fixed_size 400
		.amdhsa_private_segment_fixed_size 0
		.amdhsa_kernarg_size 96
		.amdhsa_user_sgpr_count 6
		.amdhsa_user_sgpr_private_segment_buffer 1
		.amdhsa_user_sgpr_dispatch_ptr 0
		.amdhsa_user_sgpr_queue_ptr 0
		.amdhsa_user_sgpr_kernarg_segment_ptr 1
		.amdhsa_user_sgpr_dispatch_id 0
		.amdhsa_user_sgpr_flat_scratch_init 0
		.amdhsa_user_sgpr_private_segment_size 0
		.amdhsa_wavefront_size32 1
		.amdhsa_uses_dynamic_stack 0
		.amdhsa_system_sgpr_private_segment_wavefront_offset 0
		.amdhsa_system_sgpr_workgroup_id_x 1
		.amdhsa_system_sgpr_workgroup_id_y 0
		.amdhsa_system_sgpr_workgroup_id_z 0
		.amdhsa_system_sgpr_workgroup_info 0
		.amdhsa_system_vgpr_workitem_id 0
		.amdhsa_next_free_vgpr 19
		.amdhsa_next_free_sgpr 20
		.amdhsa_reserve_vcc 1
		.amdhsa_reserve_flat_scratch 0
		.amdhsa_float_round_mode_32 0
		.amdhsa_float_round_mode_16_64 0
		.amdhsa_float_denorm_mode_32 3
		.amdhsa_float_denorm_mode_16_64 3
		.amdhsa_dx10_clamp 1
		.amdhsa_ieee_mode 1
		.amdhsa_fp16_overflow 0
		.amdhsa_workgroup_processor_mode 1
		.amdhsa_memory_ordered 1
		.amdhsa_forward_progress 1
		.amdhsa_shared_vgpr_count 0
		.amdhsa_exception_fp_ieee_invalid_op 0
		.amdhsa_exception_fp_denorm_src 0
		.amdhsa_exception_fp_ieee_div_zero 0
		.amdhsa_exception_fp_ieee_overflow 0
		.amdhsa_exception_fp_ieee_underflow 0
		.amdhsa_exception_fp_ieee_inexact 0
		.amdhsa_exception_int_div_zero 0
	.end_amdhsa_kernel
	.section	.text._ZN9rocsparseL18bsrxmvn_5x5_kernelILj50E21rocsparse_complex_numIfEliS2_S2_S2_EEvT2_20rocsparse_direction_NS_24const_host_device_scalarIT0_EES3_PKS3_PKT1_SC_S9_PKT3_PKT4_S7_PT5_21rocsparse_index_base_b,"axG",@progbits,_ZN9rocsparseL18bsrxmvn_5x5_kernelILj50E21rocsparse_complex_numIfEliS2_S2_S2_EEvT2_20rocsparse_direction_NS_24const_host_device_scalarIT0_EES3_PKS3_PKT1_SC_S9_PKT3_PKT4_S7_PT5_21rocsparse_index_base_b,comdat
.Lfunc_end10:
	.size	_ZN9rocsparseL18bsrxmvn_5x5_kernelILj50E21rocsparse_complex_numIfEliS2_S2_S2_EEvT2_20rocsparse_direction_NS_24const_host_device_scalarIT0_EES3_PKS3_PKT1_SC_S9_PKT3_PKT4_S7_PT5_21rocsparse_index_base_b, .Lfunc_end10-_ZN9rocsparseL18bsrxmvn_5x5_kernelILj50E21rocsparse_complex_numIfEliS2_S2_S2_EEvT2_20rocsparse_direction_NS_24const_host_device_scalarIT0_EES3_PKS3_PKT1_SC_S9_PKT3_PKT4_S7_PT5_21rocsparse_index_base_b
                                        ; -- End function
	.set _ZN9rocsparseL18bsrxmvn_5x5_kernelILj50E21rocsparse_complex_numIfEliS2_S2_S2_EEvT2_20rocsparse_direction_NS_24const_host_device_scalarIT0_EES3_PKS3_PKT1_SC_S9_PKT3_PKT4_S7_PT5_21rocsparse_index_base_b.num_vgpr, 19
	.set _ZN9rocsparseL18bsrxmvn_5x5_kernelILj50E21rocsparse_complex_numIfEliS2_S2_S2_EEvT2_20rocsparse_direction_NS_24const_host_device_scalarIT0_EES3_PKS3_PKT1_SC_S9_PKT3_PKT4_S7_PT5_21rocsparse_index_base_b.num_agpr, 0
	.set _ZN9rocsparseL18bsrxmvn_5x5_kernelILj50E21rocsparse_complex_numIfEliS2_S2_S2_EEvT2_20rocsparse_direction_NS_24const_host_device_scalarIT0_EES3_PKS3_PKT1_SC_S9_PKT3_PKT4_S7_PT5_21rocsparse_index_base_b.numbered_sgpr, 20
	.set _ZN9rocsparseL18bsrxmvn_5x5_kernelILj50E21rocsparse_complex_numIfEliS2_S2_S2_EEvT2_20rocsparse_direction_NS_24const_host_device_scalarIT0_EES3_PKS3_PKT1_SC_S9_PKT3_PKT4_S7_PT5_21rocsparse_index_base_b.num_named_barrier, 0
	.set _ZN9rocsparseL18bsrxmvn_5x5_kernelILj50E21rocsparse_complex_numIfEliS2_S2_S2_EEvT2_20rocsparse_direction_NS_24const_host_device_scalarIT0_EES3_PKS3_PKT1_SC_S9_PKT3_PKT4_S7_PT5_21rocsparse_index_base_b.private_seg_size, 0
	.set _ZN9rocsparseL18bsrxmvn_5x5_kernelILj50E21rocsparse_complex_numIfEliS2_S2_S2_EEvT2_20rocsparse_direction_NS_24const_host_device_scalarIT0_EES3_PKS3_PKT1_SC_S9_PKT3_PKT4_S7_PT5_21rocsparse_index_base_b.uses_vcc, 1
	.set _ZN9rocsparseL18bsrxmvn_5x5_kernelILj50E21rocsparse_complex_numIfEliS2_S2_S2_EEvT2_20rocsparse_direction_NS_24const_host_device_scalarIT0_EES3_PKS3_PKT1_SC_S9_PKT3_PKT4_S7_PT5_21rocsparse_index_base_b.uses_flat_scratch, 0
	.set _ZN9rocsparseL18bsrxmvn_5x5_kernelILj50E21rocsparse_complex_numIfEliS2_S2_S2_EEvT2_20rocsparse_direction_NS_24const_host_device_scalarIT0_EES3_PKS3_PKT1_SC_S9_PKT3_PKT4_S7_PT5_21rocsparse_index_base_b.has_dyn_sized_stack, 0
	.set _ZN9rocsparseL18bsrxmvn_5x5_kernelILj50E21rocsparse_complex_numIfEliS2_S2_S2_EEvT2_20rocsparse_direction_NS_24const_host_device_scalarIT0_EES3_PKS3_PKT1_SC_S9_PKT3_PKT4_S7_PT5_21rocsparse_index_base_b.has_recursion, 0
	.set _ZN9rocsparseL18bsrxmvn_5x5_kernelILj50E21rocsparse_complex_numIfEliS2_S2_S2_EEvT2_20rocsparse_direction_NS_24const_host_device_scalarIT0_EES3_PKS3_PKT1_SC_S9_PKT3_PKT4_S7_PT5_21rocsparse_index_base_b.has_indirect_call, 0
	.section	.AMDGPU.csdata,"",@progbits
; Kernel info:
; codeLenInByte = 1556
; TotalNumSgprs: 22
; NumVgprs: 19
; ScratchSize: 0
; MemoryBound: 0
; FloatMode: 240
; IeeeMode: 1
; LDSByteSize: 400 bytes/workgroup (compile time only)
; SGPRBlocks: 0
; VGPRBlocks: 2
; NumSGPRsForWavesPerEU: 22
; NumVGPRsForWavesPerEU: 19
; Occupancy: 16
; WaveLimiterHint : 1
; COMPUTE_PGM_RSRC2:SCRATCH_EN: 0
; COMPUTE_PGM_RSRC2:USER_SGPR: 6
; COMPUTE_PGM_RSRC2:TRAP_HANDLER: 0
; COMPUTE_PGM_RSRC2:TGID_X_EN: 1
; COMPUTE_PGM_RSRC2:TGID_Y_EN: 0
; COMPUTE_PGM_RSRC2:TGID_Z_EN: 0
; COMPUTE_PGM_RSRC2:TIDIG_COMP_CNT: 0
	.section	.text._ZN9rocsparseL18bsrxmvn_5x5_kernelILj50E21rocsparse_complex_numIdEliS2_S2_S2_EEvT2_20rocsparse_direction_NS_24const_host_device_scalarIT0_EES3_PKS3_PKT1_SC_S9_PKT3_PKT4_S7_PT5_21rocsparse_index_base_b,"axG",@progbits,_ZN9rocsparseL18bsrxmvn_5x5_kernelILj50E21rocsparse_complex_numIdEliS2_S2_S2_EEvT2_20rocsparse_direction_NS_24const_host_device_scalarIT0_EES3_PKS3_PKT1_SC_S9_PKT3_PKT4_S7_PT5_21rocsparse_index_base_b,comdat
	.globl	_ZN9rocsparseL18bsrxmvn_5x5_kernelILj50E21rocsparse_complex_numIdEliS2_S2_S2_EEvT2_20rocsparse_direction_NS_24const_host_device_scalarIT0_EES3_PKS3_PKT1_SC_S9_PKT3_PKT4_S7_PT5_21rocsparse_index_base_b ; -- Begin function _ZN9rocsparseL18bsrxmvn_5x5_kernelILj50E21rocsparse_complex_numIdEliS2_S2_S2_EEvT2_20rocsparse_direction_NS_24const_host_device_scalarIT0_EES3_PKS3_PKT1_SC_S9_PKT3_PKT4_S7_PT5_21rocsparse_index_base_b
	.p2align	8
	.type	_ZN9rocsparseL18bsrxmvn_5x5_kernelILj50E21rocsparse_complex_numIdEliS2_S2_S2_EEvT2_20rocsparse_direction_NS_24const_host_device_scalarIT0_EES3_PKS3_PKT1_SC_S9_PKT3_PKT4_S7_PT5_21rocsparse_index_base_b,@function
_ZN9rocsparseL18bsrxmvn_5x5_kernelILj50E21rocsparse_complex_numIdEliS2_S2_S2_EEvT2_20rocsparse_direction_NS_24const_host_device_scalarIT0_EES3_PKS3_PKT1_SC_S9_PKT3_PKT4_S7_PT5_21rocsparse_index_base_b: ; @_ZN9rocsparseL18bsrxmvn_5x5_kernelILj50E21rocsparse_complex_numIdEliS2_S2_S2_EEvT2_20rocsparse_direction_NS_24const_host_device_scalarIT0_EES3_PKS3_PKT1_SC_S9_PKT3_PKT4_S7_PT5_21rocsparse_index_base_b
; %bb.0:
	s_clause 0x1
	s_load_dwordx2 s[8:9], s[4:5], 0x68
	s_load_dwordx2 s[0:1], s[4:5], 0x8
	s_add_u32 s7, s4, 8
	s_addc_u32 s10, s5, 0
	s_add_u32 s11, s4, 0x50
	s_addc_u32 s12, s5, 0
	s_load_dwordx2 s[2:3], s[4:5], 0x50
	s_waitcnt lgkmcnt(0)
	s_bitcmp1_b32 s9, 0
	s_cselect_b32 s0, s7, s0
	s_cselect_b32 s1, s10, s1
	v_mov_b32_e32 v1, s0
	v_mov_b32_e32 v2, s1
	s_cselect_b32 s0, s11, s2
	s_cselect_b32 s1, s12, s3
	flat_load_dwordx4 v[5:8], v[1:2]
	v_mov_b32_e32 v1, s0
	v_mov_b32_e32 v2, s1
	flat_load_dwordx4 v[1:4], v[1:2]
	s_waitcnt vmcnt(1) lgkmcnt(1)
	v_cmp_eq_f64_e32 vcc_lo, 0, v[5:6]
	v_cmp_eq_f64_e64 s0, 0, v[7:8]
	s_and_b32 s2, vcc_lo, s0
	s_mov_b32 s0, -1
	s_and_saveexec_b32 s1, s2
	s_cbranch_execz .LBB11_2
; %bb.1:
	s_waitcnt vmcnt(0) lgkmcnt(0)
	v_cmp_neq_f64_e32 vcc_lo, 1.0, v[1:2]
	v_cmp_neq_f64_e64 s0, 0, v[3:4]
	s_or_b32 s0, vcc_lo, s0
	s_orn2_b32 s0, s0, exec_lo
.LBB11_2:
	s_or_b32 exec_lo, exec_lo, s1
	s_and_saveexec_b32 s1, s0
	s_cbranch_execz .LBB11_35
; %bb.3:
	s_clause 0x1
	s_load_dwordx4 s[0:3], s[4:5], 0x20
	s_load_dwordx2 s[10:11], s[4:5], 0x30
	s_waitcnt lgkmcnt(0)
	s_cmp_eq_u64 s[0:1], 0
	s_cbranch_scc1 .LBB11_5
; %bb.4:
	s_ashr_i32 s7, s6, 31
	s_lshl_b64 s[6:7], s[6:7], 2
	s_add_u32 s0, s0, s6
	s_addc_u32 s1, s1, s7
	s_load_dword s0, s[0:1], 0x0
	s_waitcnt lgkmcnt(0)
	s_sub_i32 s6, s0, s8
.LBB11_5:
	s_load_dword s1, s[4:5], 0x4
	v_mul_u32_u24_e32 v9, 0x3334, v0
	v_mov_b32_e32 v11, 0
	v_mov_b32_e32 v12, 0
	v_lshrrev_b32_e32 v15, 16, v9
	v_mov_b32_e32 v9, 0
	v_mov_b32_e32 v10, 0
	v_mul_lo_u16 v13, v15, 5
	v_sub_nc_u16 v19, v0, v13
	v_lshlrev_b32_e32 v13, 4, v0
	s_waitcnt lgkmcnt(0)
	s_cmp_eq_u32 s1, 1
	s_cselect_b32 s0, -1, 0
	s_cmp_lg_u32 s1, 1
	s_cselect_b32 s9, -1, 0
	s_ashr_i32 s7, s6, 31
	s_lshl_b64 s[12:13], s[6:7], 3
	s_add_u32 s2, s2, s12
	s_addc_u32 s3, s3, s13
	s_add_u32 s1, s2, 8
	s_addc_u32 s7, s3, 0
	s_add_u32 s12, s10, s12
	s_addc_u32 s13, s11, s13
	s_cmp_eq_u64 s[10:11], 0
	s_cselect_b32 s11, s7, s13
	s_cselect_b32 s10, s1, s12
	s_load_dwordx2 s[12:13], s[2:3], 0x0
	s_load_dwordx2 s[14:15], s[10:11], 0x0
	;; [unrolled: 1-line block ×3, first 2 shown]
	s_waitcnt lgkmcnt(0)
	v_cmp_ge_i64_e64 s1, s[12:13], s[14:15]
	s_and_b32 vcc_lo, exec_lo, s1
	s_cbranch_vccnz .LBB11_10
; %bb.6:
	v_mul_lo_u16 v9, v15, 52
	v_mov_b32_e32 v11, 0xa3e
	v_mov_b32_e32 v14, 0
	s_clause 0x1
	s_load_dwordx2 s[10:11], s[4:5], 0x48
	s_load_dwordx4 s[16:19], s[4:5], 0x38
	s_mul_i32 s1, s8, 0x190
	v_lshrrev_b16 v12, 8, v9
	v_mul_u32_u24_sdwa v11, v0, v11 dst_sel:DWORD dst_unused:UNUSED_PAD src0_sel:WORD_0 src1_sel:DWORD
	v_mad_u64_u32 v[9:10], null, 0x190, s12, v[13:14]
	s_mul_hi_u32 s5, s8, 0x190
	v_mul_lo_u16 v12, v12, 5
	v_lshrrev_b32_e32 v20, 16, v11
	v_and_b32_e32 v14, 0xffff, v19
	s_sub_u32 s4, s14, s8
	v_mad_u64_u32 v[10:11], null, 0x190, s13, v[10:11]
	v_sub_nc_u16 v12, v15, v12
	v_add_co_u32 v11, s7, s12, v20
	v_sub_co_u32 v9, vcc_lo, v9, s1
	v_and_b32_e32 v15, 0xff, v12
	v_add_co_ci_u32_e64 v12, null, s13, 0, s7
	v_sub_co_u32 v11, s1, v11, s8
	v_or_b32_e32 v17, 8, v9
	v_subrev_co_ci_u32_e64 v12, null, 0, v12, s1
	v_subrev_co_ci_u32_e64 v16, null, s5, v10, vcc_lo
	v_cndmask_b32_e64 v14, v14, v15, s0
	v_lshlrev_b64 v[9:10], 2, v[11:12]
	v_mov_b32_e32 v11, 0
	v_mov_b32_e32 v12, 0
	s_waitcnt lgkmcnt(0)
	v_add_co_u32 v15, vcc_lo, s18, v17
	v_add_co_ci_u32_e64 v16, null, s19, v16, vcc_lo
	v_add_co_u32 v17, vcc_lo, s16, v9
	v_add_co_ci_u32_e64 v18, null, s17, v10, vcc_lo
	v_mov_b32_e32 v9, v11
	v_mov_b32_e32 v10, v12
	s_subb_u32 s5, s15, 0
	s_sub_u32 s0, s12, s8
	s_subb_u32 s1, s13, 0
	s_branch .LBB11_8
.LBB11_7:                               ;   in Loop: Header=BB11_8 Depth=1
	s_or_b32 exec_lo, exec_lo, s7
	s_add_u32 s0, s0, 2
	s_addc_u32 s1, s1, 0
	v_add_co_u32 v15, vcc_lo, 0x320, v15
	v_cmp_ge_i64_e64 s7, s[0:1], s[4:5]
	v_add_co_ci_u32_e64 v16, null, 0, v16, vcc_lo
	v_add_co_u32 v17, vcc_lo, v17, 8
	v_add_co_ci_u32_e64 v18, null, 0, v18, vcc_lo
	s_and_b32 vcc_lo, exec_lo, s7
	s_cbranch_vccnz .LBB11_10
.LBB11_8:                               ; =>This Inner Loop Header: Depth=1
	v_add_co_u32 v21, s7, v20, s0
	v_add_co_ci_u32_e64 v22, null, 0, s1, s7
	s_mov_b32 s7, exec_lo
	v_cmpx_gt_i64_e64 s[4:5], v[21:22]
	s_cbranch_execz .LBB11_7
; %bb.9:                                ;   in Loop: Header=BB11_8 Depth=1
	global_load_dword v21, v[17:18], off
	s_waitcnt vmcnt(0)
	v_subrev_nc_u32_e32 v21, s8, v21
	v_mad_u64_u32 v[21:22], null, v21, 5, v[14:15]
	v_ashrrev_i32_e32 v22, 31, v21
	v_lshlrev_b64 v[21:22], 4, v[21:22]
	v_add_co_u32 v25, vcc_lo, s10, v21
	v_add_co_ci_u32_e64 v26, null, s11, v22, vcc_lo
	global_load_dwordx4 v[21:24], v[15:16], off offset:-8
	global_load_dwordx4 v[25:28], v[25:26], off
	s_waitcnt vmcnt(0)
	v_fma_f64 v[9:10], v[21:22], v[25:26], v[9:10]
	v_fma_f64 v[11:12], v[23:24], v[25:26], v[11:12]
	v_fma_f64 v[9:10], -v[23:24], v[27:28], v[9:10]
	v_fma_f64 v[11:12], v[21:22], v[27:28], v[11:12]
	s_branch .LBB11_7
.LBB11_10:
	s_and_b32 vcc_lo, exec_lo, s9
	ds_write_b128 v13, v[9:12]
	s_waitcnt vmcnt(0) lgkmcnt(0)
	buffer_gl0_inv
	s_cbranch_vccz .LBB11_20
; %bb.11:
	s_mov_b32 s0, exec_lo
	v_cmpx_gt_u32_e32 25, v0
	s_cbranch_execz .LBB11_13
; %bb.12:
	ds_read_b128 v[14:17], v13 offset:400
	ds_read_b128 v[20:23], v13
	s_waitcnt lgkmcnt(0)
	v_add_f64 v[14:15], v[14:15], v[20:21]
	v_add_f64 v[16:17], v[16:17], v[22:23]
	ds_write_b128 v13, v[14:17]
.LBB11_13:
	s_or_b32 exec_lo, exec_lo, s0
	s_mov_b32 s0, exec_lo
	s_waitcnt lgkmcnt(0)
	buffer_gl0_inv
	v_cmpx_eq_u16_e32 0, v19
	s_cbranch_execz .LBB11_15
; %bb.14:
	ds_read_b128 v[14:17], v13 offset:64
	ds_read_b128 v[20:23], v13
	s_waitcnt lgkmcnt(0)
	v_add_f64 v[14:15], v[14:15], v[20:21]
	v_add_f64 v[16:17], v[16:17], v[22:23]
	ds_write_b128 v13, v[14:17]
.LBB11_15:
	s_or_b32 exec_lo, exec_lo, s0
	s_mov_b32 s0, exec_lo
	s_waitcnt lgkmcnt(0)
	buffer_gl0_inv
	v_cmpx_gt_u16_e32 2, v19
	s_cbranch_execz .LBB11_17
; %bb.16:
	ds_read_b128 v[14:17], v13
	ds_read_b128 v[18:21], v13 offset:32
	s_waitcnt lgkmcnt(0)
	v_add_f64 v[14:15], v[18:19], v[14:15]
	v_add_f64 v[16:17], v[20:21], v[16:17]
	ds_write_b128 v13, v[14:17]
.LBB11_17:
	s_or_b32 exec_lo, exec_lo, s0
	v_mov_b32_e32 v17, v12
	v_mov_b32_e32 v15, v10
	v_mov_b32_e32 v16, v11
	v_mov_b32_e32 v14, v9
	s_mov_b32 s0, exec_lo
	s_waitcnt lgkmcnt(0)
	buffer_gl0_inv
	v_cmpx_gt_u32_e32 5, v0
	s_cbranch_execz .LBB11_19
; %bb.18:
	v_lshl_add_u32 v18, v0, 6, v13
	ds_read_b128 v[14:17], v18
	ds_read_b128 v[18:21], v18 offset:16
	s_waitcnt lgkmcnt(0)
	v_add_f64 v[14:15], v[18:19], v[14:15]
	v_add_f64 v[16:17], v[20:21], v[16:17]
.LBB11_19:
	s_or_b32 exec_lo, exec_lo, s0
	s_branch .LBB11_30
.LBB11_20:
                                        ; implicit-def: $vgpr16_vgpr17
                                        ; implicit-def: $vgpr14_vgpr15
	s_cbranch_execz .LBB11_30
; %bb.21:
	v_cmp_gt_u32_e32 vcc_lo, 10, v0
	s_and_saveexec_b32 s0, vcc_lo
	s_cbranch_execz .LBB11_23
; %bb.22:
	ds_read_b128 v[14:17], v13 offset:640
	ds_read_b128 v[18:21], v13
	s_waitcnt lgkmcnt(0)
	v_add_f64 v[14:15], v[14:15], v[18:19]
	v_add_f64 v[16:17], v[16:17], v[20:21]
	ds_write_b128 v13, v[14:17]
.LBB11_23:
	s_or_b32 exec_lo, exec_lo, s0
	s_mov_b32 s1, exec_lo
	s_waitcnt lgkmcnt(0)
	buffer_gl0_inv
	v_cmpx_gt_u32_e32 20, v0
	s_cbranch_execz .LBB11_25
; %bb.24:
	ds_read_b128 v[14:17], v13 offset:320
	ds_read_b128 v[18:21], v13
	s_waitcnt lgkmcnt(0)
	v_add_f64 v[14:15], v[14:15], v[18:19]
	v_add_f64 v[16:17], v[16:17], v[20:21]
	ds_write_b128 v13, v[14:17]
.LBB11_25:
	s_or_b32 exec_lo, exec_lo, s1
	s_waitcnt lgkmcnt(0)
	buffer_gl0_inv
	s_and_saveexec_b32 s0, vcc_lo
	s_cbranch_execz .LBB11_27
; %bb.26:
	ds_read_b128 v[14:17], v13 offset:160
	ds_read_b128 v[18:21], v13
	s_waitcnt lgkmcnt(0)
	v_add_f64 v[14:15], v[14:15], v[18:19]
	v_add_f64 v[16:17], v[16:17], v[20:21]
	ds_write_b128 v13, v[14:17]
.LBB11_27:
	s_or_b32 exec_lo, exec_lo, s0
	s_mov_b32 s0, exec_lo
	s_waitcnt lgkmcnt(0)
	buffer_gl0_inv
	v_cmpx_gt_u32_e32 5, v0
	s_cbranch_execz .LBB11_29
; %bb.28:
	ds_read_b128 v[9:12], v13 offset:80
	ds_read_b128 v[13:16], v13
	s_waitcnt lgkmcnt(0)
	v_add_f64 v[9:10], v[9:10], v[13:14]
	v_add_f64 v[11:12], v[11:12], v[15:16]
.LBB11_29:
	s_or_b32 exec_lo, exec_lo, s0
	v_mov_b32_e32 v17, v12
	v_mov_b32_e32 v15, v10
	;; [unrolled: 1-line block ×4, first 2 shown]
.LBB11_30:
	v_cmp_gt_u32_e32 vcc_lo, 5, v0
	s_and_b32 exec_lo, exec_lo, vcc_lo
	s_cbranch_execz .LBB11_35
; %bb.31:
	v_mul_f64 v[9:10], v[16:17], -v[7:8]
	v_mul_f64 v[11:12], v[5:6], v[16:17]
	v_cmp_eq_f64_e32 vcc_lo, 0, v[1:2]
	v_cmp_eq_f64_e64 s0, 0, v[3:4]
	v_fma_f64 v[5:6], v[5:6], v[14:15], v[9:10]
	v_fma_f64 v[7:8], v[7:8], v[14:15], v[11:12]
	s_and_b32 s0, vcc_lo, s0
	s_and_saveexec_b32 s1, s0
	s_xor_b32 s0, exec_lo, s1
	s_cbranch_execz .LBB11_33
; %bb.32:
	v_mad_u64_u32 v[0:1], null, s6, 5, v[0:1]
	v_mov_b32_e32 v1, 0
	v_lshlrev_b64 v[0:1], 4, v[0:1]
	v_add_co_u32 v0, vcc_lo, s2, v0
	v_add_co_ci_u32_e64 v1, null, s3, v1, vcc_lo
	global_store_dwordx4 v[0:1], v[5:8], off
                                        ; implicit-def: $vgpr0
                                        ; implicit-def: $vgpr1_vgpr2
                                        ; implicit-def: $vgpr5_vgpr6
.LBB11_33:
	s_andn2_saveexec_b32 s0, s0
	s_cbranch_execz .LBB11_35
; %bb.34:
	v_mad_u64_u32 v[9:10], null, s6, 5, v[0:1]
	v_mov_b32_e32 v10, 0
	v_lshlrev_b64 v[9:10], 4, v[9:10]
	v_add_co_u32 v13, vcc_lo, s2, v9
	v_add_co_ci_u32_e64 v14, null, s3, v10, vcc_lo
	global_load_dwordx4 v[9:12], v[13:14], off
	s_waitcnt vmcnt(0)
	v_fma_f64 v[5:6], v[1:2], v[9:10], v[5:6]
	v_fma_f64 v[7:8], v[3:4], v[9:10], v[7:8]
	v_fma_f64 v[3:4], -v[3:4], v[11:12], v[5:6]
	v_fma_f64 v[5:6], v[1:2], v[11:12], v[7:8]
	global_store_dwordx4 v[13:14], v[3:6], off
.LBB11_35:
	s_endpgm
	.section	.rodata,"a",@progbits
	.p2align	6, 0x0
	.amdhsa_kernel _ZN9rocsparseL18bsrxmvn_5x5_kernelILj50E21rocsparse_complex_numIdEliS2_S2_S2_EEvT2_20rocsparse_direction_NS_24const_host_device_scalarIT0_EES3_PKS3_PKT1_SC_S9_PKT3_PKT4_S7_PT5_21rocsparse_index_base_b
		.amdhsa_group_segment_fixed_size 800
		.amdhsa_private_segment_fixed_size 0
		.amdhsa_kernarg_size 112
		.amdhsa_user_sgpr_count 6
		.amdhsa_user_sgpr_private_segment_buffer 1
		.amdhsa_user_sgpr_dispatch_ptr 0
		.amdhsa_user_sgpr_queue_ptr 0
		.amdhsa_user_sgpr_kernarg_segment_ptr 1
		.amdhsa_user_sgpr_dispatch_id 0
		.amdhsa_user_sgpr_flat_scratch_init 0
		.amdhsa_user_sgpr_private_segment_size 0
		.amdhsa_wavefront_size32 1
		.amdhsa_uses_dynamic_stack 0
		.amdhsa_system_sgpr_private_segment_wavefront_offset 0
		.amdhsa_system_sgpr_workgroup_id_x 1
		.amdhsa_system_sgpr_workgroup_id_y 0
		.amdhsa_system_sgpr_workgroup_id_z 0
		.amdhsa_system_sgpr_workgroup_info 0
		.amdhsa_system_vgpr_workitem_id 0
		.amdhsa_next_free_vgpr 29
		.amdhsa_next_free_sgpr 20
		.amdhsa_reserve_vcc 1
		.amdhsa_reserve_flat_scratch 0
		.amdhsa_float_round_mode_32 0
		.amdhsa_float_round_mode_16_64 0
		.amdhsa_float_denorm_mode_32 3
		.amdhsa_float_denorm_mode_16_64 3
		.amdhsa_dx10_clamp 1
		.amdhsa_ieee_mode 1
		.amdhsa_fp16_overflow 0
		.amdhsa_workgroup_processor_mode 1
		.amdhsa_memory_ordered 1
		.amdhsa_forward_progress 1
		.amdhsa_shared_vgpr_count 0
		.amdhsa_exception_fp_ieee_invalid_op 0
		.amdhsa_exception_fp_denorm_src 0
		.amdhsa_exception_fp_ieee_div_zero 0
		.amdhsa_exception_fp_ieee_overflow 0
		.amdhsa_exception_fp_ieee_underflow 0
		.amdhsa_exception_fp_ieee_inexact 0
		.amdhsa_exception_int_div_zero 0
	.end_amdhsa_kernel
	.section	.text._ZN9rocsparseL18bsrxmvn_5x5_kernelILj50E21rocsparse_complex_numIdEliS2_S2_S2_EEvT2_20rocsparse_direction_NS_24const_host_device_scalarIT0_EES3_PKS3_PKT1_SC_S9_PKT3_PKT4_S7_PT5_21rocsparse_index_base_b,"axG",@progbits,_ZN9rocsparseL18bsrxmvn_5x5_kernelILj50E21rocsparse_complex_numIdEliS2_S2_S2_EEvT2_20rocsparse_direction_NS_24const_host_device_scalarIT0_EES3_PKS3_PKT1_SC_S9_PKT3_PKT4_S7_PT5_21rocsparse_index_base_b,comdat
.Lfunc_end11:
	.size	_ZN9rocsparseL18bsrxmvn_5x5_kernelILj50E21rocsparse_complex_numIdEliS2_S2_S2_EEvT2_20rocsparse_direction_NS_24const_host_device_scalarIT0_EES3_PKS3_PKT1_SC_S9_PKT3_PKT4_S7_PT5_21rocsparse_index_base_b, .Lfunc_end11-_ZN9rocsparseL18bsrxmvn_5x5_kernelILj50E21rocsparse_complex_numIdEliS2_S2_S2_EEvT2_20rocsparse_direction_NS_24const_host_device_scalarIT0_EES3_PKS3_PKT1_SC_S9_PKT3_PKT4_S7_PT5_21rocsparse_index_base_b
                                        ; -- End function
	.set _ZN9rocsparseL18bsrxmvn_5x5_kernelILj50E21rocsparse_complex_numIdEliS2_S2_S2_EEvT2_20rocsparse_direction_NS_24const_host_device_scalarIT0_EES3_PKS3_PKT1_SC_S9_PKT3_PKT4_S7_PT5_21rocsparse_index_base_b.num_vgpr, 29
	.set _ZN9rocsparseL18bsrxmvn_5x5_kernelILj50E21rocsparse_complex_numIdEliS2_S2_S2_EEvT2_20rocsparse_direction_NS_24const_host_device_scalarIT0_EES3_PKS3_PKT1_SC_S9_PKT3_PKT4_S7_PT5_21rocsparse_index_base_b.num_agpr, 0
	.set _ZN9rocsparseL18bsrxmvn_5x5_kernelILj50E21rocsparse_complex_numIdEliS2_S2_S2_EEvT2_20rocsparse_direction_NS_24const_host_device_scalarIT0_EES3_PKS3_PKT1_SC_S9_PKT3_PKT4_S7_PT5_21rocsparse_index_base_b.numbered_sgpr, 20
	.set _ZN9rocsparseL18bsrxmvn_5x5_kernelILj50E21rocsparse_complex_numIdEliS2_S2_S2_EEvT2_20rocsparse_direction_NS_24const_host_device_scalarIT0_EES3_PKS3_PKT1_SC_S9_PKT3_PKT4_S7_PT5_21rocsparse_index_base_b.num_named_barrier, 0
	.set _ZN9rocsparseL18bsrxmvn_5x5_kernelILj50E21rocsparse_complex_numIdEliS2_S2_S2_EEvT2_20rocsparse_direction_NS_24const_host_device_scalarIT0_EES3_PKS3_PKT1_SC_S9_PKT3_PKT4_S7_PT5_21rocsparse_index_base_b.private_seg_size, 0
	.set _ZN9rocsparseL18bsrxmvn_5x5_kernelILj50E21rocsparse_complex_numIdEliS2_S2_S2_EEvT2_20rocsparse_direction_NS_24const_host_device_scalarIT0_EES3_PKS3_PKT1_SC_S9_PKT3_PKT4_S7_PT5_21rocsparse_index_base_b.uses_vcc, 1
	.set _ZN9rocsparseL18bsrxmvn_5x5_kernelILj50E21rocsparse_complex_numIdEliS2_S2_S2_EEvT2_20rocsparse_direction_NS_24const_host_device_scalarIT0_EES3_PKS3_PKT1_SC_S9_PKT3_PKT4_S7_PT5_21rocsparse_index_base_b.uses_flat_scratch, 0
	.set _ZN9rocsparseL18bsrxmvn_5x5_kernelILj50E21rocsparse_complex_numIdEliS2_S2_S2_EEvT2_20rocsparse_direction_NS_24const_host_device_scalarIT0_EES3_PKS3_PKT1_SC_S9_PKT3_PKT4_S7_PT5_21rocsparse_index_base_b.has_dyn_sized_stack, 0
	.set _ZN9rocsparseL18bsrxmvn_5x5_kernelILj50E21rocsparse_complex_numIdEliS2_S2_S2_EEvT2_20rocsparse_direction_NS_24const_host_device_scalarIT0_EES3_PKS3_PKT1_SC_S9_PKT3_PKT4_S7_PT5_21rocsparse_index_base_b.has_recursion, 0
	.set _ZN9rocsparseL18bsrxmvn_5x5_kernelILj50E21rocsparse_complex_numIdEliS2_S2_S2_EEvT2_20rocsparse_direction_NS_24const_host_device_scalarIT0_EES3_PKS3_PKT1_SC_S9_PKT3_PKT4_S7_PT5_21rocsparse_index_base_b.has_indirect_call, 0
	.section	.AMDGPU.csdata,"",@progbits
; Kernel info:
; codeLenInByte = 1700
; TotalNumSgprs: 22
; NumVgprs: 29
; ScratchSize: 0
; MemoryBound: 0
; FloatMode: 240
; IeeeMode: 1
; LDSByteSize: 800 bytes/workgroup (compile time only)
; SGPRBlocks: 0
; VGPRBlocks: 3
; NumSGPRsForWavesPerEU: 22
; NumVGPRsForWavesPerEU: 29
; Occupancy: 16
; WaveLimiterHint : 1
; COMPUTE_PGM_RSRC2:SCRATCH_EN: 0
; COMPUTE_PGM_RSRC2:USER_SGPR: 6
; COMPUTE_PGM_RSRC2:TRAP_HANDLER: 0
; COMPUTE_PGM_RSRC2:TGID_X_EN: 1
; COMPUTE_PGM_RSRC2:TGID_Y_EN: 0
; COMPUTE_PGM_RSRC2:TGID_Z_EN: 0
; COMPUTE_PGM_RSRC2:TIDIG_COMP_CNT: 0
	.section	.text._ZN9rocsparseL18bsrxmvn_5x5_kernelILj50EfllfffEEvT2_20rocsparse_direction_NS_24const_host_device_scalarIT0_EES1_PKS1_PKT1_SA_S7_PKT3_PKT4_S5_PT5_21rocsparse_index_base_b,"axG",@progbits,_ZN9rocsparseL18bsrxmvn_5x5_kernelILj50EfllfffEEvT2_20rocsparse_direction_NS_24const_host_device_scalarIT0_EES1_PKS1_PKT1_SA_S7_PKT3_PKT4_S5_PT5_21rocsparse_index_base_b,comdat
	.globl	_ZN9rocsparseL18bsrxmvn_5x5_kernelILj50EfllfffEEvT2_20rocsparse_direction_NS_24const_host_device_scalarIT0_EES1_PKS1_PKT1_SA_S7_PKT3_PKT4_S5_PT5_21rocsparse_index_base_b ; -- Begin function _ZN9rocsparseL18bsrxmvn_5x5_kernelILj50EfllfffEEvT2_20rocsparse_direction_NS_24const_host_device_scalarIT0_EES1_PKS1_PKT1_SA_S7_PKT3_PKT4_S5_PT5_21rocsparse_index_base_b
	.p2align	8
	.type	_ZN9rocsparseL18bsrxmvn_5x5_kernelILj50EfllfffEEvT2_20rocsparse_direction_NS_24const_host_device_scalarIT0_EES1_PKS1_PKT1_SA_S7_PKT3_PKT4_S5_PT5_21rocsparse_index_base_b,@function
_ZN9rocsparseL18bsrxmvn_5x5_kernelILj50EfllfffEEvT2_20rocsparse_direction_NS_24const_host_device_scalarIT0_EES1_PKS1_PKT1_SA_S7_PKT3_PKT4_S5_PT5_21rocsparse_index_base_b: ; @_ZN9rocsparseL18bsrxmvn_5x5_kernelILj50EfllfffEEvT2_20rocsparse_direction_NS_24const_host_device_scalarIT0_EES1_PKS1_PKT1_SA_S7_PKT3_PKT4_S5_PT5_21rocsparse_index_base_b
; %bb.0:
	s_clause 0x2
	s_load_dwordx2 s[12:13], s[4:5], 0x60
	s_load_dwordx2 s[10:11], s[4:5], 0x10
	;; [unrolled: 1-line block ×3, first 2 shown]
	s_waitcnt lgkmcnt(0)
	s_bitcmp1_b32 s13, 0
	s_cselect_b32 s0, -1, 0
	s_and_b32 vcc_lo, exec_lo, s0
	s_xor_b32 s0, s0, -1
	s_cbranch_vccnz .LBB12_2
; %bb.1:
	s_load_dword s10, s[10:11], 0x0
.LBB12_2:
	s_andn2_b32 vcc_lo, exec_lo, s0
	s_cbranch_vccnz .LBB12_4
; %bb.3:
	s_load_dword s8, s[8:9], 0x0
.LBB12_4:
	s_waitcnt lgkmcnt(0)
	v_cmp_neq_f32_e64 s0, s10, 0
	v_cmp_neq_f32_e64 s1, s8, 1.0
	s_mov_b32 s7, 0
	s_or_b32 s0, s0, s1
	s_andn2_b32 vcc_lo, exec_lo, s0
	s_cbranch_vccnz .LBB12_39
; %bb.5:
	s_clause 0x1
	s_load_dwordx4 s[0:3], s[4:5], 0x20
	s_load_dwordx2 s[14:15], s[4:5], 0x30
	s_waitcnt lgkmcnt(0)
	s_cmp_eq_u64 s[0:1], 0
	s_cbranch_scc1 .LBB12_7
; %bb.6:
	s_lshl_b64 s[6:7], s[6:7], 3
	s_add_u32 s0, s0, s6
	s_addc_u32 s1, s1, s7
	s_load_dwordx2 s[0:1], s[0:1], 0x0
	s_waitcnt lgkmcnt(0)
	s_sub_u32 s6, s0, s12
	s_subb_u32 s7, s1, 0
.LBB12_7:
	s_load_dword s1, s[4:5], 0x8
	v_mul_u32_u24_e32 v1, 0x3334, v0
	v_lshrrev_b32_e32 v3, 16, v1
	v_mul_lo_u16 v2, v3, 5
	s_waitcnt lgkmcnt(0)
	s_cmp_eq_u32 s1, 1
	s_cselect_b32 s0, -1, 0
	s_cmp_lg_u32 s1, 1
	s_cselect_b32 s9, -1, 0
	s_lshl_b64 s[16:17], s[6:7], 3
	s_add_u32 s2, s2, s16
	s_addc_u32 s3, s3, s17
	s_add_u32 s1, s2, 8
	s_addc_u32 s11, s3, 0
	;; [unrolled: 2-line block ×3, first 2 shown]
	s_cmp_eq_u64 s[14:15], 0
	s_cselect_b32 s17, s11, s16
	s_cselect_b32 s16, s1, s13
	s_load_dwordx2 s[14:15], s[2:3], 0x0
	s_load_dwordx2 s[16:17], s[16:17], 0x0
	s_waitcnt lgkmcnt(0)
	v_cmp_lt_i64_e64 s1, s[14:15], s[16:17]
	s_and_b32 vcc_lo, exec_lo, s1
	s_cbranch_vccnz .LBB12_9
; %bb.8:
	v_mov_b32_e32 v1, 0
	s_mov_b32 s1, 0
	s_branch .LBB12_10
.LBB12_9:
	s_mov_b32 s1, -1
.LBB12_10:
	s_load_dwordx2 s[2:3], s[4:5], 0x58
	v_sub_nc_u16 v10, v0, v2
	v_mov_b32_e32 v9, 0
	v_lshlrev_b32_e32 v2, 2, v0
	s_andn2_b32 vcc_lo, exec_lo, s1
	s_cbranch_vccnz .LBB12_15
; %bb.11:
	v_mul_lo_u16 v1, v3, 52
	v_mov_b32_e32 v4, 0xa3e
	v_and_b32_e32 v7, 0xffff, v10
	s_clause 0x1
	s_load_dwordx4 s[20:23], s[4:5], 0x38
	s_load_dwordx2 s[18:19], s[4:5], 0x48
	s_mul_i32 s5, s12, 0x64
	v_lshrrev_b16 v1, 8, v1
	v_mul_u32_u24_sdwa v4, v0, v4 dst_sel:DWORD dst_unused:UNUSED_PAD src0_sel:WORD_0 src1_sel:DWORD
	s_mul_hi_u32 s1, s12, 0x64
	s_sub_u32 s4, s16, s12
	v_mul_lo_u16 v5, v1, 5
	v_mov_b32_e32 v1, 0
	v_lshrrev_b32_e32 v11, 16, v4
	v_sub_nc_u16 v5, v3, v5
	v_mov_b32_e32 v3, v1
	v_and_b32_e32 v4, 0xff, v5
	v_mad_u64_u32 v[5:6], null, 0x64, s14, v[2:3]
	v_cndmask_b32_e64 v4, v7, v4, s0
	v_add_co_u32 v7, s0, s14, v11
	v_add_co_ci_u32_e64 v8, null, s15, 0, s0
	v_mov_b32_e32 v3, v6
	v_lshlrev_b32_e32 v4, 2, v4
	v_sub_co_u32 v6, vcc_lo, v7, s12
	v_subrev_co_ci_u32_e64 v7, null, 0, v8, vcc_lo
	v_mad_u64_u32 v[8:9], null, 0x64, s15, v[3:4]
	v_sub_co_u32 v5, vcc_lo, v5, s5
	s_waitcnt lgkmcnt(0)
	v_add_co_u32 v3, s0, s18, v4
	v_add_co_ci_u32_e64 v4, null, s19, 0, s0
	v_subrev_co_ci_u32_e64 v9, null, s1, v8, vcc_lo
	v_lshlrev_b64 v[7:8], 3, v[6:7]
	v_add_co_u32 v5, vcc_lo, s22, v5
	v_add_co_ci_u32_e64 v6, null, s23, v9, vcc_lo
	v_mov_b32_e32 v9, v1
	v_add_co_u32 v7, vcc_lo, s20, v7
	v_add_co_ci_u32_e64 v8, null, s21, v8, vcc_lo
	s_subb_u32 s5, s17, 0
	s_sub_u32 s0, s14, s12
	s_subb_u32 s1, s15, 0
	s_inst_prefetch 0x1
	s_branch .LBB12_13
	.p2align	6
.LBB12_12:                              ;   in Loop: Header=BB12_13 Depth=1
	s_or_b32 exec_lo, exec_lo, s11
	s_add_u32 s0, s0, 2
	s_addc_u32 s1, s1, 0
	v_add_co_u32 v5, vcc_lo, 0xc8, v5
	v_cmp_ge_i64_e64 s11, s[0:1], s[4:5]
	v_add_co_ci_u32_e64 v6, null, 0, v6, vcc_lo
	v_add_co_u32 v7, vcc_lo, v7, 16
	v_add_co_ci_u32_e64 v8, null, 0, v8, vcc_lo
	s_and_b32 vcc_lo, exec_lo, s11
	s_cbranch_vccnz .LBB12_15
.LBB12_13:                              ; =>This Inner Loop Header: Depth=1
	v_add_co_u32 v12, s11, v11, s0
	v_add_co_ci_u32_e64 v13, null, 0, s1, s11
	s_mov_b32 s11, exec_lo
	v_cmpx_gt_i64_e64 s[4:5], v[12:13]
	s_cbranch_execz .LBB12_12
; %bb.14:                               ;   in Loop: Header=BB12_13 Depth=1
	global_load_dwordx2 v[12:13], v[7:8], off
	s_waitcnt vmcnt(0)
	v_sub_co_u32 v12, vcc_lo, v12, s12
	v_subrev_co_ci_u32_e64 v14, null, 0, v13, vcc_lo
	v_mad_u64_u32 v[12:13], null, v12, 20, v[3:4]
	v_mad_u64_u32 v[13:14], null, v14, 20, v[13:14]
	global_load_dword v14, v[5:6], off
	global_load_dword v12, v[12:13], off
	s_waitcnt vmcnt(0)
	v_fmac_f32_e32 v9, v14, v12
	s_branch .LBB12_12
.LBB12_15:
	s_inst_prefetch 0x2
	s_and_b32 vcc_lo, exec_lo, s9
	ds_write_b32 v2, v9
	s_waitcnt lgkmcnt(0)
	buffer_gl0_inv
	s_cbranch_vccz .LBB12_25
; %bb.16:
	s_mov_b32 s0, exec_lo
	v_cmpx_gt_u32_e32 25, v0
	s_cbranch_execz .LBB12_18
; %bb.17:
	ds_read2_b32 v[3:4], v2 offset1:25
	s_waitcnt lgkmcnt(0)
	v_add_f32_e32 v3, v4, v3
	ds_write_b32 v2, v3
.LBB12_18:
	s_or_b32 exec_lo, exec_lo, s0
	s_mov_b32 s0, exec_lo
	s_waitcnt lgkmcnt(0)
	buffer_gl0_inv
	v_cmpx_eq_u16_e32 0, v10
	s_cbranch_execz .LBB12_20
; %bb.19:
	ds_read2_b32 v[3:4], v2 offset1:4
	s_waitcnt lgkmcnt(0)
	v_add_f32_e32 v3, v4, v3
	ds_write_b32 v2, v3
.LBB12_20:
	s_or_b32 exec_lo, exec_lo, s0
	s_mov_b32 s0, exec_lo
	s_waitcnt lgkmcnt(0)
	buffer_gl0_inv
	v_cmpx_gt_u16_e32 2, v10
	s_cbranch_execz .LBB12_22
; %bb.21:
	ds_read2_b32 v[3:4], v2 offset1:2
	s_waitcnt lgkmcnt(0)
	v_add_f32_e32 v3, v4, v3
	ds_write_b32 v2, v3
.LBB12_22:
	s_or_b32 exec_lo, exec_lo, s0
	v_mov_b32_e32 v3, v9
	s_mov_b32 s0, exec_lo
	s_waitcnt lgkmcnt(0)
	buffer_gl0_inv
	v_cmpx_gt_u32_e32 5, v0
	s_cbranch_execz .LBB12_24
; %bb.23:
	v_lshl_add_u32 v3, v0, 4, v2
	ds_read2_b32 v[3:4], v3 offset1:1
	s_waitcnt lgkmcnt(0)
	v_add_f32_e32 v3, v3, v4
.LBB12_24:
	s_or_b32 exec_lo, exec_lo, s0
	s_branch .LBB12_35
.LBB12_25:
                                        ; implicit-def: $vgpr3
	s_cbranch_execz .LBB12_35
; %bb.26:
	v_cmp_gt_u32_e32 vcc_lo, 10, v0
	s_and_saveexec_b32 s0, vcc_lo
	s_cbranch_execz .LBB12_28
; %bb.27:
	ds_read2_b32 v[3:4], v2 offset1:40
	s_waitcnt lgkmcnt(0)
	v_add_f32_e32 v3, v4, v3
	ds_write_b32 v2, v3
.LBB12_28:
	s_or_b32 exec_lo, exec_lo, s0
	s_mov_b32 s1, exec_lo
	s_waitcnt lgkmcnt(0)
	buffer_gl0_inv
	v_cmpx_gt_u32_e32 20, v0
	s_cbranch_execz .LBB12_30
; %bb.29:
	ds_read2_b32 v[3:4], v2 offset1:20
	s_waitcnt lgkmcnt(0)
	v_add_f32_e32 v3, v4, v3
	ds_write_b32 v2, v3
.LBB12_30:
	s_or_b32 exec_lo, exec_lo, s1
	s_waitcnt lgkmcnt(0)
	buffer_gl0_inv
	s_and_saveexec_b32 s0, vcc_lo
	s_cbranch_execz .LBB12_32
; %bb.31:
	ds_read2_b32 v[3:4], v2 offset1:10
	s_waitcnt lgkmcnt(0)
	v_add_f32_e32 v3, v4, v3
	ds_write_b32 v2, v3
.LBB12_32:
	s_or_b32 exec_lo, exec_lo, s0
	s_mov_b32 s0, exec_lo
	s_waitcnt lgkmcnt(0)
	buffer_gl0_inv
	v_cmpx_gt_u32_e32 5, v0
	s_cbranch_execz .LBB12_34
; %bb.33:
	ds_read2_b32 v[2:3], v2 offset1:5
	s_waitcnt lgkmcnt(0)
	v_add_f32_e32 v9, v2, v3
.LBB12_34:
	s_or_b32 exec_lo, exec_lo, s0
	v_mov_b32_e32 v3, v9
.LBB12_35:
	s_mov_b32 s0, exec_lo
	v_cmpx_gt_u32_e32 5, v0
	s_cbranch_execz .LBB12_39
; %bb.36:
	v_cmp_eq_f32_e64 s4, s8, 0
	v_lshlrev_b64 v[0:1], 2, v[0:1]
	v_mul_f32_e32 v2, s10, v3
	s_mov_b32 s1, 0
	s_mul_i32 s0, s7, 20
	s_and_b32 vcc_lo, exec_lo, s4
	s_mul_hi_u32 s4, s6, 20
	s_mul_i32 s5, s6, 20
	s_cbranch_vccz .LBB12_40
; %bb.37:
	s_add_i32 s6, s4, s0
	s_add_u32 s7, s2, s5
	s_addc_u32 s6, s3, s6
	v_add_co_u32 v3, vcc_lo, s7, v0
	v_add_co_ci_u32_e64 v4, null, s6, v1, vcc_lo
	global_store_dword v[3:4], v2, off
	s_andn2_b32 vcc_lo, exec_lo, s1
	s_cbranch_vccnz .LBB12_39
.LBB12_38:
	s_add_i32 s4, s4, s0
	s_add_u32 s0, s2, s5
	s_addc_u32 s1, s3, s4
	v_add_co_u32 v0, vcc_lo, s0, v0
	v_add_co_ci_u32_e64 v1, null, s1, v1, vcc_lo
	global_load_dword v3, v[0:1], off
	s_waitcnt vmcnt(0)
	v_fmac_f32_e32 v2, s8, v3
	global_store_dword v[0:1], v2, off
.LBB12_39:
	s_endpgm
.LBB12_40:
	s_branch .LBB12_38
	.section	.rodata,"a",@progbits
	.p2align	6, 0x0
	.amdhsa_kernel _ZN9rocsparseL18bsrxmvn_5x5_kernelILj50EfllfffEEvT2_20rocsparse_direction_NS_24const_host_device_scalarIT0_EES1_PKS1_PKT1_SA_S7_PKT3_PKT4_S5_PT5_21rocsparse_index_base_b
		.amdhsa_group_segment_fixed_size 200
		.amdhsa_private_segment_fixed_size 0
		.amdhsa_kernarg_size 104
		.amdhsa_user_sgpr_count 6
		.amdhsa_user_sgpr_private_segment_buffer 1
		.amdhsa_user_sgpr_dispatch_ptr 0
		.amdhsa_user_sgpr_queue_ptr 0
		.amdhsa_user_sgpr_kernarg_segment_ptr 1
		.amdhsa_user_sgpr_dispatch_id 0
		.amdhsa_user_sgpr_flat_scratch_init 0
		.amdhsa_user_sgpr_private_segment_size 0
		.amdhsa_wavefront_size32 1
		.amdhsa_uses_dynamic_stack 0
		.amdhsa_system_sgpr_private_segment_wavefront_offset 0
		.amdhsa_system_sgpr_workgroup_id_x 1
		.amdhsa_system_sgpr_workgroup_id_y 0
		.amdhsa_system_sgpr_workgroup_id_z 0
		.amdhsa_system_sgpr_workgroup_info 0
		.amdhsa_system_vgpr_workitem_id 0
		.amdhsa_next_free_vgpr 15
		.amdhsa_next_free_sgpr 24
		.amdhsa_reserve_vcc 1
		.amdhsa_reserve_flat_scratch 0
		.amdhsa_float_round_mode_32 0
		.amdhsa_float_round_mode_16_64 0
		.amdhsa_float_denorm_mode_32 3
		.amdhsa_float_denorm_mode_16_64 3
		.amdhsa_dx10_clamp 1
		.amdhsa_ieee_mode 1
		.amdhsa_fp16_overflow 0
		.amdhsa_workgroup_processor_mode 1
		.amdhsa_memory_ordered 1
		.amdhsa_forward_progress 1
		.amdhsa_shared_vgpr_count 0
		.amdhsa_exception_fp_ieee_invalid_op 0
		.amdhsa_exception_fp_denorm_src 0
		.amdhsa_exception_fp_ieee_div_zero 0
		.amdhsa_exception_fp_ieee_overflow 0
		.amdhsa_exception_fp_ieee_underflow 0
		.amdhsa_exception_fp_ieee_inexact 0
		.amdhsa_exception_int_div_zero 0
	.end_amdhsa_kernel
	.section	.text._ZN9rocsparseL18bsrxmvn_5x5_kernelILj50EfllfffEEvT2_20rocsparse_direction_NS_24const_host_device_scalarIT0_EES1_PKS1_PKT1_SA_S7_PKT3_PKT4_S5_PT5_21rocsparse_index_base_b,"axG",@progbits,_ZN9rocsparseL18bsrxmvn_5x5_kernelILj50EfllfffEEvT2_20rocsparse_direction_NS_24const_host_device_scalarIT0_EES1_PKS1_PKT1_SA_S7_PKT3_PKT4_S5_PT5_21rocsparse_index_base_b,comdat
.Lfunc_end12:
	.size	_ZN9rocsparseL18bsrxmvn_5x5_kernelILj50EfllfffEEvT2_20rocsparse_direction_NS_24const_host_device_scalarIT0_EES1_PKS1_PKT1_SA_S7_PKT3_PKT4_S5_PT5_21rocsparse_index_base_b, .Lfunc_end12-_ZN9rocsparseL18bsrxmvn_5x5_kernelILj50EfllfffEEvT2_20rocsparse_direction_NS_24const_host_device_scalarIT0_EES1_PKS1_PKT1_SA_S7_PKT3_PKT4_S5_PT5_21rocsparse_index_base_b
                                        ; -- End function
	.set _ZN9rocsparseL18bsrxmvn_5x5_kernelILj50EfllfffEEvT2_20rocsparse_direction_NS_24const_host_device_scalarIT0_EES1_PKS1_PKT1_SA_S7_PKT3_PKT4_S5_PT5_21rocsparse_index_base_b.num_vgpr, 15
	.set _ZN9rocsparseL18bsrxmvn_5x5_kernelILj50EfllfffEEvT2_20rocsparse_direction_NS_24const_host_device_scalarIT0_EES1_PKS1_PKT1_SA_S7_PKT3_PKT4_S5_PT5_21rocsparse_index_base_b.num_agpr, 0
	.set _ZN9rocsparseL18bsrxmvn_5x5_kernelILj50EfllfffEEvT2_20rocsparse_direction_NS_24const_host_device_scalarIT0_EES1_PKS1_PKT1_SA_S7_PKT3_PKT4_S5_PT5_21rocsparse_index_base_b.numbered_sgpr, 24
	.set _ZN9rocsparseL18bsrxmvn_5x5_kernelILj50EfllfffEEvT2_20rocsparse_direction_NS_24const_host_device_scalarIT0_EES1_PKS1_PKT1_SA_S7_PKT3_PKT4_S5_PT5_21rocsparse_index_base_b.num_named_barrier, 0
	.set _ZN9rocsparseL18bsrxmvn_5x5_kernelILj50EfllfffEEvT2_20rocsparse_direction_NS_24const_host_device_scalarIT0_EES1_PKS1_PKT1_SA_S7_PKT3_PKT4_S5_PT5_21rocsparse_index_base_b.private_seg_size, 0
	.set _ZN9rocsparseL18bsrxmvn_5x5_kernelILj50EfllfffEEvT2_20rocsparse_direction_NS_24const_host_device_scalarIT0_EES1_PKS1_PKT1_SA_S7_PKT3_PKT4_S5_PT5_21rocsparse_index_base_b.uses_vcc, 1
	.set _ZN9rocsparseL18bsrxmvn_5x5_kernelILj50EfllfffEEvT2_20rocsparse_direction_NS_24const_host_device_scalarIT0_EES1_PKS1_PKT1_SA_S7_PKT3_PKT4_S5_PT5_21rocsparse_index_base_b.uses_flat_scratch, 0
	.set _ZN9rocsparseL18bsrxmvn_5x5_kernelILj50EfllfffEEvT2_20rocsparse_direction_NS_24const_host_device_scalarIT0_EES1_PKS1_PKT1_SA_S7_PKT3_PKT4_S5_PT5_21rocsparse_index_base_b.has_dyn_sized_stack, 0
	.set _ZN9rocsparseL18bsrxmvn_5x5_kernelILj50EfllfffEEvT2_20rocsparse_direction_NS_24const_host_device_scalarIT0_EES1_PKS1_PKT1_SA_S7_PKT3_PKT4_S5_PT5_21rocsparse_index_base_b.has_recursion, 0
	.set _ZN9rocsparseL18bsrxmvn_5x5_kernelILj50EfllfffEEvT2_20rocsparse_direction_NS_24const_host_device_scalarIT0_EES1_PKS1_PKT1_SA_S7_PKT3_PKT4_S5_PT5_21rocsparse_index_base_b.has_indirect_call, 0
	.section	.AMDGPU.csdata,"",@progbits
; Kernel info:
; codeLenInByte = 1396
; TotalNumSgprs: 26
; NumVgprs: 15
; ScratchSize: 0
; MemoryBound: 0
; FloatMode: 240
; IeeeMode: 1
; LDSByteSize: 200 bytes/workgroup (compile time only)
; SGPRBlocks: 0
; VGPRBlocks: 1
; NumSGPRsForWavesPerEU: 26
; NumVGPRsForWavesPerEU: 15
; Occupancy: 16
; WaveLimiterHint : 1
; COMPUTE_PGM_RSRC2:SCRATCH_EN: 0
; COMPUTE_PGM_RSRC2:USER_SGPR: 6
; COMPUTE_PGM_RSRC2:TRAP_HANDLER: 0
; COMPUTE_PGM_RSRC2:TGID_X_EN: 1
; COMPUTE_PGM_RSRC2:TGID_Y_EN: 0
; COMPUTE_PGM_RSRC2:TGID_Z_EN: 0
; COMPUTE_PGM_RSRC2:TIDIG_COMP_CNT: 0
	.section	.text._ZN9rocsparseL19sbsrxmvn_5x5_kernelILj256EL20rocsparse_direction_0EllEEvT2_NS_24const_host_device_scalarIfEES2_PKS2_PKT1_S9_S6_PKfSB_S4_Pf21rocsparse_index_base_b,"axG",@progbits,_ZN9rocsparseL19sbsrxmvn_5x5_kernelILj256EL20rocsparse_direction_0EllEEvT2_NS_24const_host_device_scalarIfEES2_PKS2_PKT1_S9_S6_PKfSB_S4_Pf21rocsparse_index_base_b,comdat
	.globl	_ZN9rocsparseL19sbsrxmvn_5x5_kernelILj256EL20rocsparse_direction_0EllEEvT2_NS_24const_host_device_scalarIfEES2_PKS2_PKT1_S9_S6_PKfSB_S4_Pf21rocsparse_index_base_b ; -- Begin function _ZN9rocsparseL19sbsrxmvn_5x5_kernelILj256EL20rocsparse_direction_0EllEEvT2_NS_24const_host_device_scalarIfEES2_PKS2_PKT1_S9_S6_PKfSB_S4_Pf21rocsparse_index_base_b
	.p2align	8
	.type	_ZN9rocsparseL19sbsrxmvn_5x5_kernelILj256EL20rocsparse_direction_0EllEEvT2_NS_24const_host_device_scalarIfEES2_PKS2_PKT1_S9_S6_PKfSB_S4_Pf21rocsparse_index_base_b,@function
_ZN9rocsparseL19sbsrxmvn_5x5_kernelILj256EL20rocsparse_direction_0EllEEvT2_NS_24const_host_device_scalarIfEES2_PKS2_PKT1_S9_S6_PKfSB_S4_Pf21rocsparse_index_base_b: ; @_ZN9rocsparseL19sbsrxmvn_5x5_kernelILj256EL20rocsparse_direction_0EllEEvT2_NS_24const_host_device_scalarIfEES2_PKS2_PKT1_S9_S6_PKfSB_S4_Pf21rocsparse_index_base_b
; %bb.0:
	s_clause 0x2
	s_load_dwordx2 s[14:15], s[4:5], 0x58
	s_load_dwordx4 s[0:3], s[4:5], 0x0
	s_load_dwordx2 s[12:13], s[4:5], 0x48
	s_waitcnt lgkmcnt(0)
	s_bitcmp1_b32 s15, 0
	s_cselect_b32 s7, -1, 0
	s_and_b32 vcc_lo, exec_lo, s7
	s_xor_b32 s7, s7, -1
	s_cbranch_vccnz .LBB13_2
; %bb.1:
	s_load_dword s2, s[2:3], 0x0
.LBB13_2:
	s_andn2_b32 vcc_lo, exec_lo, s7
	s_cbranch_vccnz .LBB13_4
; %bb.3:
	s_load_dword s12, s[12:13], 0x0
.LBB13_4:
	s_waitcnt lgkmcnt(0)
	v_cmp_neq_f32_e64 s3, s2, 0
	v_cmp_neq_f32_e64 s7, s12, 1.0
	s_or_b32 s3, s3, s7
	s_andn2_b32 vcc_lo, exec_lo, s3
	s_cbranch_vccnz .LBB13_20
; %bb.5:
	s_clause 0x1
	s_load_dword s3, s[4:5], 0x6c
	s_load_dwordx2 s[8:9], s[4:5], 0x18
	s_waitcnt lgkmcnt(0)
	s_lshr_b32 s3, s3, 16
	s_cmp_eq_u64 s[8:9], 0
	v_mad_u64_u32 v[1:2], null, s6, s3, v[1:2]
	s_cbranch_scc1 .LBB13_7
; %bb.6:
	v_ashrrev_i32_e32 v2, 31, v1
	v_lshlrev_b64 v[1:2], 3, v[1:2]
	v_add_co_u32 v1, vcc_lo, s8, v1
	v_add_co_ci_u32_e64 v2, null, s9, v2, vcc_lo
	global_load_dword v1, v[1:2], off
	s_waitcnt vmcnt(0)
	v_subrev_nc_u32_e32 v1, s14, v1
.LBB13_7:
	v_ashrrev_i32_e32 v2, 31, v1
	v_cmp_gt_i64_e32 vcc_lo, s[0:1], v[1:2]
	v_cmp_gt_u32_e64 s0, 25, v0
	s_and_b32 s0, vcc_lo, s0
	s_and_saveexec_b32 s1, s0
	s_cbranch_execz .LBB13_20
; %bb.8:
	s_clause 0x1
	s_load_dwordx4 s[8:11], s[4:5], 0x20
	s_load_dwordx2 s[6:7], s[4:5], 0x50
	v_lshlrev_b64 v[2:3], 3, v[1:2]
	v_mov_b32_e32 v17, 0
	s_mov_b32 s1, exec_lo
	s_waitcnt lgkmcnt(0)
	v_add_co_u32 v4, vcc_lo, s8, v2
	v_add_co_ci_u32_e64 v5, null, s9, v3, vcc_lo
	v_add_co_u32 v2, vcc_lo, s10, v2
	v_add_co_ci_u32_e64 v3, null, s11, v3, vcc_lo
	;; [unrolled: 2-line block ×3, first 2 shown]
	s_cmp_eq_u64 s[10:11], 0
	s_cselect_b32 vcc_lo, -1, 0
	v_cndmask_b32_e32 v3, v3, v7, vcc_lo
	v_cndmask_b32_e32 v2, v2, v6, vcc_lo
	global_load_dwordx2 v[11:12], v[4:5], off
	global_load_dwordx2 v[3:4], v[2:3], off
	v_mul_u32_u24_e32 v2, 0xcccd, v0
	v_lshrrev_b32_e32 v5, 18, v2
	v_mul_lo_u16 v2, v5, 5
	v_sub_nc_u16 v2, v0, v2
	v_and_b32_e32 v2, 0xffff, v2
	s_waitcnt vmcnt(0)
	v_cmpx_lt_i64_e64 v[11:12], v[3:4]
	s_cbranch_execz .LBB13_18
; %bb.9:
	s_load_dwordx4 s[8:11], s[4:5], 0x30
	v_sub_co_u32 v3, vcc_lo, v3, s14
	v_subrev_co_ci_u32_e64 v4, null, 0, v4, vcc_lo
	v_and_b32_e32 v13, 0xffff, v5
	v_sub_co_u32 v5, vcc_lo, v11, s14
	v_subrev_co_ci_u32_e64 v6, null, 0, v12, vcc_lo
	v_mul_u32_u24_e32 v7, 5, v2
	v_add_co_u32 v9, vcc_lo, v5, 1
	v_add_co_ci_u32_e64 v10, null, 0, v6, vcc_lo
	v_add_lshl_u32 v7, v7, v13, 2
	s_load_dwordx2 s[4:5], s[4:5], 0x40
	v_lshlrev_b32_e32 v14, 2, v13
	v_cmp_gt_i64_e32 vcc_lo, v[9:10], v[3:4]
	v_mov_b32_e32 v17, 0
	s_waitcnt lgkmcnt(0)
	v_add_co_u32 v7, s0, s10, v7
	v_add_co_ci_u32_e64 v8, null, s11, 0, s0
	v_cndmask_b32_e32 v9, v3, v9, vcc_lo
	v_cndmask_b32_e32 v10, v4, v10, vcc_lo
	s_mov_b32 s15, 0
	v_mad_u64_u32 v[7:8], null, 0x64, v5, v[7:8]
	v_add_co_u32 v18, vcc_lo, v9, s14
	v_add_co_ci_u32_e64 v19, null, 0, v10, vcc_lo
	s_mov_b32 s3, exec_lo
	v_sub_nc_u32_e32 v10, v18, v11
	v_mad_u64_u32 v[8:9], null, 0x64, v6, v[8:9]
	v_add_co_u32 v9, s0, s4, v14
	v_and_b32_e32 v13, 3, v10
	v_add_co_ci_u32_e64 v10, null, s5, 0, s0
	v_cmpx_ne_u32_e32 0, v13
	s_cbranch_execz .LBB13_13
; %bb.10:
	v_lshlrev_b64 v[15:16], 3, v[11:12]
	s_lshl_b64 s[4:5], s[14:15], 3
	v_mul_hi_u32_u24_e32 v14, 0x64, v13
	v_mul_u32_u24_e32 v13, 0x64, v13
	v_mov_b32_e32 v17, 0
	v_sub_co_u32 v15, vcc_lo, v15, s4
	v_subrev_co_ci_u32_e64 v16, null, s5, v16, vcc_lo
	v_add_co_u32 v15, vcc_lo, s8, v15
	v_add_co_ci_u32_e64 v16, null, s9, v16, vcc_lo
	s_inst_prefetch 0x1
	.p2align	6
.LBB13_11:                              ; =>This Inner Loop Header: Depth=1
	global_load_dwordx2 v[20:21], v[15:16], off
	v_add_co_u32 v15, s0, v15, 8
	v_add_co_ci_u32_e64 v16, null, 0, v16, s0
	s_waitcnt vmcnt(0)
	v_sub_co_u32 v20, vcc_lo, v20, s14
	v_subrev_co_ci_u32_e64 v22, null, 0, v21, vcc_lo
	v_mad_u64_u32 v[20:21], null, v20, 20, v[9:10]
	v_mad_u64_u32 v[21:22], null, v22, 20, v[21:22]
	global_load_dword v22, v[7:8], off
	global_load_dword v20, v[20:21], off
	v_add_co_u32 v7, vcc_lo, 0x64, v7
	v_add_co_ci_u32_e64 v8, null, 0, v8, vcc_lo
	v_add_co_u32 v13, vcc_lo, 0xffffff9c, v13
	v_add_co_ci_u32_e64 v14, null, -1, v14, vcc_lo
	v_add_co_u32 v5, vcc_lo, v5, 1
	v_add_co_ci_u32_e64 v6, null, 0, v6, vcc_lo
	v_cmp_eq_u64_e32 vcc_lo, 0, v[13:14]
	s_or_b32 s15, vcc_lo, s15
	s_waitcnt vmcnt(0)
	v_fmac_f32_e32 v17, v22, v20
	s_andn2_b32 exec_lo, exec_lo, s15
	s_cbranch_execnz .LBB13_11
; %bb.12:
	s_inst_prefetch 0x2
	s_or_b32 exec_lo, exec_lo, s15
.LBB13_13:
	s_or_b32 exec_lo, exec_lo, s3
	v_sub_co_u32 v11, vcc_lo, v11, v18
	v_sub_co_ci_u32_e64 v12, null, v12, v19, vcc_lo
	s_mov_b32 s3, exec_lo
	v_cmpx_gt_u64_e32 -3, v[11:12]
	s_cbranch_execz .LBB13_17
; %bb.14:
	v_lshlrev_b64 v[11:12], 3, v[5:6]
	s_mov_b32 s4, 0
	v_add_co_u32 v11, vcc_lo, s8, v11
	v_add_co_ci_u32_e64 v12, null, s9, v12, vcc_lo
	v_add_co_u32 v11, vcc_lo, v11, 16
	v_add_co_ci_u32_e64 v12, null, 0, v12, vcc_lo
.LBB13_15:                              ; =>This Inner Loop Header: Depth=1
	s_clause 0x1
	global_load_dwordx4 v[13:16], v[11:12], off offset:-16
	global_load_dwordx4 v[18:21], v[11:12], off
	s_clause 0x1
	global_load_dword v26, v[7:8], off
	global_load_dword v27, v[7:8], off offset:100
	v_add_co_u32 v11, s0, v11, 32
	v_add_co_ci_u32_e64 v12, null, 0, v12, s0
	s_waitcnt vmcnt(3)
	v_sub_co_u32 v13, vcc_lo, v13, s14
	v_subrev_co_ci_u32_e64 v22, null, 0, v14, vcc_lo
	v_sub_co_u32 v15, vcc_lo, v15, s14
	v_subrev_co_ci_u32_e64 v24, null, 0, v16, vcc_lo
	v_mad_u64_u32 v[13:14], null, v13, 20, v[9:10]
	v_mad_u64_u32 v[15:16], null, v15, 20, v[9:10]
	s_waitcnt vmcnt(2)
	v_sub_co_u32 v18, vcc_lo, v18, s14
	v_subrev_co_ci_u32_e64 v25, null, 0, v19, vcc_lo
	v_sub_co_u32 v20, vcc_lo, v20, s14
	v_mad_u64_u32 v[22:23], null, v22, 20, v[14:15]
	v_subrev_co_ci_u32_e64 v28, null, 0, v21, vcc_lo
	v_mad_u64_u32 v[18:19], null, v18, 20, v[9:10]
	v_mad_u64_u32 v[20:21], null, v20, 20, v[9:10]
	v_mov_b32_e32 v14, v22
	v_mad_u64_u32 v[23:24], null, v24, 20, v[16:17]
	v_add_co_u32 v5, vcc_lo, v5, 4
	global_load_dword v22, v[13:14], off
	v_mad_u64_u32 v[24:25], null, v25, 20, v[19:20]
	v_add_co_ci_u32_e64 v6, null, 0, v6, vcc_lo
	v_mov_b32_e32 v16, v23
	v_mov_b32_e32 v19, v24
	s_waitcnt vmcnt(0)
	v_mad_u64_u32 v[13:14], null, v28, 20, v[21:22]
	global_load_dword v14, v[15:16], off
	global_load_dword v15, v[7:8], off offset:200
	v_fmac_f32_e32 v17, v26, v22
	v_mov_b32_e32 v21, v13
	global_load_dword v13, v[18:19], off
	global_load_dword v16, v[7:8], off offset:300
	global_load_dword v18, v[20:21], off
	v_add_co_u32 v7, vcc_lo, 0x190, v7
	v_add_co_ci_u32_e64 v8, null, 0, v8, vcc_lo
	v_cmp_ge_i64_e32 vcc_lo, v[5:6], v[3:4]
	s_or_b32 s4, vcc_lo, s4
	s_waitcnt vmcnt(4)
	v_fmac_f32_e32 v17, v27, v14
	s_waitcnt vmcnt(2)
	v_fmac_f32_e32 v17, v15, v13
	;; [unrolled: 2-line block ×3, first 2 shown]
	s_andn2_b32 exec_lo, exec_lo, s4
	s_cbranch_execnz .LBB13_15
; %bb.16:
	s_or_b32 exec_lo, exec_lo, s4
.LBB13_17:
	s_or_b32 exec_lo, exec_lo, s3
.LBB13_18:
	s_or_b32 exec_lo, exec_lo, s1
	v_lshlrev_b32_e32 v6, 2, v2
	v_cmp_gt_u32_e32 vcc_lo, 5, v0
	ds_bpermute_b32 v3, v6, v17 offset:20
	ds_bpermute_b32 v4, v6, v17 offset:40
	;; [unrolled: 1-line block ×4, first 2 shown]
	s_and_b32 exec_lo, exec_lo, vcc_lo
	s_cbranch_execz .LBB13_20
; %bb.19:
	s_waitcnt lgkmcnt(3)
	v_mad_u64_u32 v[0:1], null, v1, 5, v[2:3]
	v_add_f32_e32 v3, v17, v3
	s_waitcnt lgkmcnt(2)
	v_add_f32_e32 v3, v3, v4
	v_ashrrev_i32_e32 v1, 31, v0
	s_waitcnt lgkmcnt(1)
	v_add_f32_e32 v3, v3, v5
	v_lshlrev_b64 v[0:1], 2, v[0:1]
	s_waitcnt lgkmcnt(0)
	v_add_f32_e32 v3, v3, v6
	v_add_co_u32 v0, vcc_lo, s6, v0
	v_add_co_ci_u32_e64 v1, null, s7, v1, vcc_lo
	global_load_dword v2, v[0:1], off
	s_waitcnt vmcnt(0)
	v_mul_f32_e32 v2, s12, v2
	v_fmac_f32_e32 v2, s2, v3
	global_store_dword v[0:1], v2, off
.LBB13_20:
	s_endpgm
	.section	.rodata,"a",@progbits
	.p2align	6, 0x0
	.amdhsa_kernel _ZN9rocsparseL19sbsrxmvn_5x5_kernelILj256EL20rocsparse_direction_0EllEEvT2_NS_24const_host_device_scalarIfEES2_PKS2_PKT1_S9_S6_PKfSB_S4_Pf21rocsparse_index_base_b
		.amdhsa_group_segment_fixed_size 0
		.amdhsa_private_segment_fixed_size 0
		.amdhsa_kernarg_size 352
		.amdhsa_user_sgpr_count 6
		.amdhsa_user_sgpr_private_segment_buffer 1
		.amdhsa_user_sgpr_dispatch_ptr 0
		.amdhsa_user_sgpr_queue_ptr 0
		.amdhsa_user_sgpr_kernarg_segment_ptr 1
		.amdhsa_user_sgpr_dispatch_id 0
		.amdhsa_user_sgpr_flat_scratch_init 0
		.amdhsa_user_sgpr_private_segment_size 0
		.amdhsa_wavefront_size32 1
		.amdhsa_uses_dynamic_stack 0
		.amdhsa_system_sgpr_private_segment_wavefront_offset 0
		.amdhsa_system_sgpr_workgroup_id_x 1
		.amdhsa_system_sgpr_workgroup_id_y 0
		.amdhsa_system_sgpr_workgroup_id_z 0
		.amdhsa_system_sgpr_workgroup_info 0
		.amdhsa_system_vgpr_workitem_id 1
		.amdhsa_next_free_vgpr 29
		.amdhsa_next_free_sgpr 16
		.amdhsa_reserve_vcc 1
		.amdhsa_reserve_flat_scratch 0
		.amdhsa_float_round_mode_32 0
		.amdhsa_float_round_mode_16_64 0
		.amdhsa_float_denorm_mode_32 3
		.amdhsa_float_denorm_mode_16_64 3
		.amdhsa_dx10_clamp 1
		.amdhsa_ieee_mode 1
		.amdhsa_fp16_overflow 0
		.amdhsa_workgroup_processor_mode 1
		.amdhsa_memory_ordered 1
		.amdhsa_forward_progress 1
		.amdhsa_shared_vgpr_count 0
		.amdhsa_exception_fp_ieee_invalid_op 0
		.amdhsa_exception_fp_denorm_src 0
		.amdhsa_exception_fp_ieee_div_zero 0
		.amdhsa_exception_fp_ieee_overflow 0
		.amdhsa_exception_fp_ieee_underflow 0
		.amdhsa_exception_fp_ieee_inexact 0
		.amdhsa_exception_int_div_zero 0
	.end_amdhsa_kernel
	.section	.text._ZN9rocsparseL19sbsrxmvn_5x5_kernelILj256EL20rocsparse_direction_0EllEEvT2_NS_24const_host_device_scalarIfEES2_PKS2_PKT1_S9_S6_PKfSB_S4_Pf21rocsparse_index_base_b,"axG",@progbits,_ZN9rocsparseL19sbsrxmvn_5x5_kernelILj256EL20rocsparse_direction_0EllEEvT2_NS_24const_host_device_scalarIfEES2_PKS2_PKT1_S9_S6_PKfSB_S4_Pf21rocsparse_index_base_b,comdat
.Lfunc_end13:
	.size	_ZN9rocsparseL19sbsrxmvn_5x5_kernelILj256EL20rocsparse_direction_0EllEEvT2_NS_24const_host_device_scalarIfEES2_PKS2_PKT1_S9_S6_PKfSB_S4_Pf21rocsparse_index_base_b, .Lfunc_end13-_ZN9rocsparseL19sbsrxmvn_5x5_kernelILj256EL20rocsparse_direction_0EllEEvT2_NS_24const_host_device_scalarIfEES2_PKS2_PKT1_S9_S6_PKfSB_S4_Pf21rocsparse_index_base_b
                                        ; -- End function
	.set _ZN9rocsparseL19sbsrxmvn_5x5_kernelILj256EL20rocsparse_direction_0EllEEvT2_NS_24const_host_device_scalarIfEES2_PKS2_PKT1_S9_S6_PKfSB_S4_Pf21rocsparse_index_base_b.num_vgpr, 29
	.set _ZN9rocsparseL19sbsrxmvn_5x5_kernelILj256EL20rocsparse_direction_0EllEEvT2_NS_24const_host_device_scalarIfEES2_PKS2_PKT1_S9_S6_PKfSB_S4_Pf21rocsparse_index_base_b.num_agpr, 0
	.set _ZN9rocsparseL19sbsrxmvn_5x5_kernelILj256EL20rocsparse_direction_0EllEEvT2_NS_24const_host_device_scalarIfEES2_PKS2_PKT1_S9_S6_PKfSB_S4_Pf21rocsparse_index_base_b.numbered_sgpr, 16
	.set _ZN9rocsparseL19sbsrxmvn_5x5_kernelILj256EL20rocsparse_direction_0EllEEvT2_NS_24const_host_device_scalarIfEES2_PKS2_PKT1_S9_S6_PKfSB_S4_Pf21rocsparse_index_base_b.num_named_barrier, 0
	.set _ZN9rocsparseL19sbsrxmvn_5x5_kernelILj256EL20rocsparse_direction_0EllEEvT2_NS_24const_host_device_scalarIfEES2_PKS2_PKT1_S9_S6_PKfSB_S4_Pf21rocsparse_index_base_b.private_seg_size, 0
	.set _ZN9rocsparseL19sbsrxmvn_5x5_kernelILj256EL20rocsparse_direction_0EllEEvT2_NS_24const_host_device_scalarIfEES2_PKS2_PKT1_S9_S6_PKfSB_S4_Pf21rocsparse_index_base_b.uses_vcc, 1
	.set _ZN9rocsparseL19sbsrxmvn_5x5_kernelILj256EL20rocsparse_direction_0EllEEvT2_NS_24const_host_device_scalarIfEES2_PKS2_PKT1_S9_S6_PKfSB_S4_Pf21rocsparse_index_base_b.uses_flat_scratch, 0
	.set _ZN9rocsparseL19sbsrxmvn_5x5_kernelILj256EL20rocsparse_direction_0EllEEvT2_NS_24const_host_device_scalarIfEES2_PKS2_PKT1_S9_S6_PKfSB_S4_Pf21rocsparse_index_base_b.has_dyn_sized_stack, 0
	.set _ZN9rocsparseL19sbsrxmvn_5x5_kernelILj256EL20rocsparse_direction_0EllEEvT2_NS_24const_host_device_scalarIfEES2_PKS2_PKT1_S9_S6_PKfSB_S4_Pf21rocsparse_index_base_b.has_recursion, 0
	.set _ZN9rocsparseL19sbsrxmvn_5x5_kernelILj256EL20rocsparse_direction_0EllEEvT2_NS_24const_host_device_scalarIfEES2_PKS2_PKT1_S9_S6_PKfSB_S4_Pf21rocsparse_index_base_b.has_indirect_call, 0
	.section	.AMDGPU.csdata,"",@progbits
; Kernel info:
; codeLenInByte = 1444
; TotalNumSgprs: 18
; NumVgprs: 29
; ScratchSize: 0
; MemoryBound: 0
; FloatMode: 240
; IeeeMode: 1
; LDSByteSize: 0 bytes/workgroup (compile time only)
; SGPRBlocks: 0
; VGPRBlocks: 3
; NumSGPRsForWavesPerEU: 18
; NumVGPRsForWavesPerEU: 29
; Occupancy: 16
; WaveLimiterHint : 1
; COMPUTE_PGM_RSRC2:SCRATCH_EN: 0
; COMPUTE_PGM_RSRC2:USER_SGPR: 6
; COMPUTE_PGM_RSRC2:TRAP_HANDLER: 0
; COMPUTE_PGM_RSRC2:TGID_X_EN: 1
; COMPUTE_PGM_RSRC2:TGID_Y_EN: 0
; COMPUTE_PGM_RSRC2:TGID_Z_EN: 0
; COMPUTE_PGM_RSRC2:TIDIG_COMP_CNT: 1
	.section	.text._ZN9rocsparseL19sbsrxmvn_5x5_kernelILj256EL20rocsparse_direction_1EllEEvT2_NS_24const_host_device_scalarIfEES2_PKS2_PKT1_S9_S6_PKfSB_S4_Pf21rocsparse_index_base_b,"axG",@progbits,_ZN9rocsparseL19sbsrxmvn_5x5_kernelILj256EL20rocsparse_direction_1EllEEvT2_NS_24const_host_device_scalarIfEES2_PKS2_PKT1_S9_S6_PKfSB_S4_Pf21rocsparse_index_base_b,comdat
	.globl	_ZN9rocsparseL19sbsrxmvn_5x5_kernelILj256EL20rocsparse_direction_1EllEEvT2_NS_24const_host_device_scalarIfEES2_PKS2_PKT1_S9_S6_PKfSB_S4_Pf21rocsparse_index_base_b ; -- Begin function _ZN9rocsparseL19sbsrxmvn_5x5_kernelILj256EL20rocsparse_direction_1EllEEvT2_NS_24const_host_device_scalarIfEES2_PKS2_PKT1_S9_S6_PKfSB_S4_Pf21rocsparse_index_base_b
	.p2align	8
	.type	_ZN9rocsparseL19sbsrxmvn_5x5_kernelILj256EL20rocsparse_direction_1EllEEvT2_NS_24const_host_device_scalarIfEES2_PKS2_PKT1_S9_S6_PKfSB_S4_Pf21rocsparse_index_base_b,@function
_ZN9rocsparseL19sbsrxmvn_5x5_kernelILj256EL20rocsparse_direction_1EllEEvT2_NS_24const_host_device_scalarIfEES2_PKS2_PKT1_S9_S6_PKfSB_S4_Pf21rocsparse_index_base_b: ; @_ZN9rocsparseL19sbsrxmvn_5x5_kernelILj256EL20rocsparse_direction_1EllEEvT2_NS_24const_host_device_scalarIfEES2_PKS2_PKT1_S9_S6_PKfSB_S4_Pf21rocsparse_index_base_b
; %bb.0:
	s_clause 0x2
	s_load_dwordx2 s[14:15], s[4:5], 0x58
	s_load_dwordx4 s[0:3], s[4:5], 0x0
	s_load_dwordx2 s[12:13], s[4:5], 0x48
	s_waitcnt lgkmcnt(0)
	s_bitcmp1_b32 s15, 0
	s_cselect_b32 s7, -1, 0
	s_and_b32 vcc_lo, exec_lo, s7
	s_xor_b32 s7, s7, -1
	s_cbranch_vccnz .LBB14_2
; %bb.1:
	s_load_dword s2, s[2:3], 0x0
.LBB14_2:
	s_andn2_b32 vcc_lo, exec_lo, s7
	s_cbranch_vccnz .LBB14_4
; %bb.3:
	s_load_dword s12, s[12:13], 0x0
.LBB14_4:
	s_waitcnt lgkmcnt(0)
	v_cmp_neq_f32_e64 s3, s2, 0
	v_cmp_neq_f32_e64 s7, s12, 1.0
	s_or_b32 s3, s3, s7
	s_andn2_b32 vcc_lo, exec_lo, s3
	s_cbranch_vccnz .LBB14_20
; %bb.5:
	s_clause 0x1
	s_load_dword s3, s[4:5], 0x6c
	s_load_dwordx2 s[8:9], s[4:5], 0x18
	s_waitcnt lgkmcnt(0)
	s_lshr_b32 s3, s3, 16
	s_cmp_eq_u64 s[8:9], 0
	v_mad_u64_u32 v[2:3], null, s6, s3, v[1:2]
	s_cbranch_scc1 .LBB14_7
; %bb.6:
	v_ashrrev_i32_e32 v3, 31, v2
	v_lshlrev_b64 v[1:2], 3, v[2:3]
	v_add_co_u32 v1, vcc_lo, s8, v1
	v_add_co_ci_u32_e64 v2, null, s9, v2, vcc_lo
	global_load_dword v1, v[1:2], off
	s_waitcnt vmcnt(0)
	v_subrev_nc_u32_e32 v2, s14, v1
.LBB14_7:
	v_ashrrev_i32_e32 v3, 31, v2
	v_cmp_gt_i64_e32 vcc_lo, s[0:1], v[2:3]
	v_cmp_gt_u32_e64 s0, 25, v0
	s_and_b32 s0, vcc_lo, s0
	s_and_saveexec_b32 s1, s0
	s_cbranch_execz .LBB14_20
; %bb.8:
	s_clause 0x1
	s_load_dwordx4 s[8:11], s[4:5], 0x20
	s_load_dwordx2 s[6:7], s[4:5], 0x50
	v_lshlrev_b64 v[3:4], 3, v[2:3]
	s_mov_b32 s1, exec_lo
	s_waitcnt lgkmcnt(0)
	v_add_co_u32 v5, vcc_lo, s8, v3
	v_add_co_ci_u32_e64 v6, null, s9, v4, vcc_lo
	v_add_co_u32 v1, vcc_lo, s10, v3
	v_add_co_ci_u32_e64 v3, null, s11, v4, vcc_lo
	;; [unrolled: 2-line block ×3, first 2 shown]
	s_cmp_eq_u64 s[10:11], 0
	s_cselect_b32 vcc_lo, -1, 0
	v_cndmask_b32_e32 v4, v3, v4, vcc_lo
	v_cndmask_b32_e32 v3, v1, v7, vcc_lo
	global_load_dwordx2 v[11:12], v[5:6], off
	global_load_dwordx2 v[3:4], v[3:4], off
	v_mul_u32_u24_e32 v1, 0xcccd, v0
	v_lshrrev_b32_e32 v17, 18, v1
	v_mov_b32_e32 v1, 0
	s_waitcnt vmcnt(0)
	v_cmpx_lt_i64_e64 v[11:12], v[3:4]
	s_cbranch_execz .LBB14_18
; %bb.9:
	s_load_dwordx4 s[8:11], s[4:5], 0x30
	v_sub_co_u32 v3, vcc_lo, v3, s14
	v_mov_b32_e32 v1, 0
	v_subrev_co_ci_u32_e64 v4, null, 0, v4, vcc_lo
	v_sub_co_u32 v5, vcc_lo, v11, s14
	v_subrev_co_ci_u32_e64 v6, null, 0, v12, vcc_lo
	v_lshlrev_b64 v[7:8], 2, v[0:1]
	v_add_co_u32 v9, vcc_lo, v5, 1
	v_add_co_ci_u32_e64 v10, null, 0, v6, vcc_lo
	s_load_dwordx2 s[4:5], s[4:5], 0x40
	v_mov_b32_e32 v13, 2
	s_mov_b32 s15, 0
	v_cmp_gt_i64_e32 vcc_lo, v[9:10], v[3:4]
	s_mov_b32 s3, exec_lo
	s_waitcnt lgkmcnt(0)
	v_add_co_u32 v7, s0, s10, v7
	v_add_co_ci_u32_e64 v8, null, s11, v8, s0
	v_cndmask_b32_e32 v9, v3, v9, vcc_lo
	v_cndmask_b32_e32 v10, v4, v10, vcc_lo
	v_mad_u64_u32 v[7:8], null, 0x64, v5, v[7:8]
	v_add_co_u32 v18, vcc_lo, v9, s14
	v_add_co_ci_u32_e64 v19, null, 0, v10, vcc_lo
	v_sub_nc_u32_e32 v10, v18, v11
	v_mad_u64_u32 v[8:9], null, 0x64, v6, v[8:9]
	v_lshlrev_b32_sdwa v9, v13, v17 dst_sel:DWORD dst_unused:UNUSED_PAD src0_sel:DWORD src1_sel:WORD_0
	v_and_b32_e32 v13, 3, v10
	v_add_co_u32 v9, s0, s4, v9
	v_add_co_ci_u32_e64 v10, null, s5, 0, s0
	v_cmpx_ne_u32_e32 0, v13
	s_cbranch_execz .LBB14_13
; %bb.10:
	v_lshlrev_b64 v[15:16], 3, v[11:12]
	s_lshl_b64 s[4:5], s[14:15], 3
	v_mul_hi_u32_u24_e32 v14, 0x64, v13
	v_mul_u32_u24_e32 v13, 0x64, v13
	v_sub_co_u32 v1, vcc_lo, v15, s4
	v_subrev_co_ci_u32_e64 v16, null, s5, v16, vcc_lo
	v_add_co_u32 v15, vcc_lo, s8, v1
	v_add_co_ci_u32_e64 v16, null, s9, v16, vcc_lo
	v_mov_b32_e32 v1, 0
	s_inst_prefetch 0x1
	.p2align	6
.LBB14_11:                              ; =>This Inner Loop Header: Depth=1
	global_load_dwordx2 v[20:21], v[15:16], off
	v_add_co_u32 v15, s0, v15, 8
	v_add_co_ci_u32_e64 v16, null, 0, v16, s0
	s_waitcnt vmcnt(0)
	v_sub_co_u32 v20, vcc_lo, v20, s14
	v_subrev_co_ci_u32_e64 v22, null, 0, v21, vcc_lo
	v_mad_u64_u32 v[20:21], null, v20, 20, v[9:10]
	v_mad_u64_u32 v[21:22], null, v22, 20, v[21:22]
	global_load_dword v22, v[7:8], off
	global_load_dword v20, v[20:21], off
	v_add_co_u32 v7, vcc_lo, 0x64, v7
	v_add_co_ci_u32_e64 v8, null, 0, v8, vcc_lo
	v_add_co_u32 v13, vcc_lo, 0xffffff9c, v13
	v_add_co_ci_u32_e64 v14, null, -1, v14, vcc_lo
	v_add_co_u32 v5, vcc_lo, v5, 1
	v_add_co_ci_u32_e64 v6, null, 0, v6, vcc_lo
	v_cmp_eq_u64_e32 vcc_lo, 0, v[13:14]
	s_or_b32 s15, vcc_lo, s15
	s_waitcnt vmcnt(0)
	v_fmac_f32_e32 v1, v22, v20
	s_andn2_b32 exec_lo, exec_lo, s15
	s_cbranch_execnz .LBB14_11
; %bb.12:
	s_inst_prefetch 0x2
	s_or_b32 exec_lo, exec_lo, s15
.LBB14_13:
	s_or_b32 exec_lo, exec_lo, s3
	v_sub_co_u32 v11, vcc_lo, v11, v18
	v_sub_co_ci_u32_e64 v12, null, v12, v19, vcc_lo
	s_mov_b32 s3, exec_lo
	v_cmpx_gt_u64_e32 -3, v[11:12]
	s_cbranch_execz .LBB14_17
; %bb.14:
	v_lshlrev_b64 v[11:12], 3, v[5:6]
	s_mov_b32 s4, 0
	v_add_co_u32 v11, vcc_lo, s8, v11
	v_add_co_ci_u32_e64 v12, null, s9, v12, vcc_lo
	v_add_co_u32 v11, vcc_lo, v11, 16
	v_add_co_ci_u32_e64 v12, null, 0, v12, vcc_lo
.LBB14_15:                              ; =>This Inner Loop Header: Depth=1
	s_clause 0x1
	global_load_dwordx4 v[13:16], v[11:12], off offset:-16
	global_load_dwordx4 v[18:21], v[11:12], off
	s_clause 0x1
	global_load_dword v26, v[7:8], off
	global_load_dword v27, v[7:8], off offset:100
	v_add_co_u32 v11, s0, v11, 32
	v_add_co_ci_u32_e64 v12, null, 0, v12, s0
	s_waitcnt vmcnt(3)
	v_sub_co_u32 v13, vcc_lo, v13, s14
	v_subrev_co_ci_u32_e64 v22, null, 0, v14, vcc_lo
	v_sub_co_u32 v15, vcc_lo, v15, s14
	v_subrev_co_ci_u32_e64 v24, null, 0, v16, vcc_lo
	v_mad_u64_u32 v[13:14], null, v13, 20, v[9:10]
	v_mad_u64_u32 v[15:16], null, v15, 20, v[9:10]
	s_waitcnt vmcnt(2)
	v_sub_co_u32 v18, vcc_lo, v18, s14
	v_subrev_co_ci_u32_e64 v25, null, 0, v19, vcc_lo
	v_sub_co_u32 v20, vcc_lo, v20, s14
	v_mad_u64_u32 v[22:23], null, v22, 20, v[14:15]
	v_subrev_co_ci_u32_e64 v28, null, 0, v21, vcc_lo
	v_mad_u64_u32 v[18:19], null, v18, 20, v[9:10]
	v_mad_u64_u32 v[20:21], null, v20, 20, v[9:10]
	v_mov_b32_e32 v14, v22
	v_mad_u64_u32 v[23:24], null, v24, 20, v[16:17]
	v_add_co_u32 v5, vcc_lo, v5, 4
	global_load_dword v22, v[13:14], off
	v_mad_u64_u32 v[24:25], null, v25, 20, v[19:20]
	v_add_co_ci_u32_e64 v6, null, 0, v6, vcc_lo
	v_mov_b32_e32 v16, v23
	v_mov_b32_e32 v19, v24
	s_waitcnt vmcnt(0)
	v_mad_u64_u32 v[13:14], null, v28, 20, v[21:22]
	global_load_dword v14, v[15:16], off
	global_load_dword v15, v[7:8], off offset:200
	v_fmac_f32_e32 v1, v26, v22
	v_mov_b32_e32 v21, v13
	global_load_dword v13, v[18:19], off
	global_load_dword v16, v[7:8], off offset:300
	global_load_dword v18, v[20:21], off
	v_add_co_u32 v7, vcc_lo, 0x190, v7
	v_add_co_ci_u32_e64 v8, null, 0, v8, vcc_lo
	v_cmp_ge_i64_e32 vcc_lo, v[5:6], v[3:4]
	s_or_b32 s4, vcc_lo, s4
	s_waitcnt vmcnt(4)
	v_fmac_f32_e32 v1, v27, v14
	s_waitcnt vmcnt(2)
	v_fmac_f32_e32 v1, v15, v13
	;; [unrolled: 2-line block ×3, first 2 shown]
	s_andn2_b32 exec_lo, exec_lo, s4
	s_cbranch_execnz .LBB14_15
; %bb.16:
	s_or_b32 exec_lo, exec_lo, s4
.LBB14_17:
	s_or_b32 exec_lo, exec_lo, s3
.LBB14_18:
	s_or_b32 exec_lo, exec_lo, s1
	v_mul_lo_u16 v3, v17, 5
	v_cmp_gt_u32_e32 vcc_lo, 5, v0
	v_sub_nc_u16 v3, v0, v3
	v_and_b32_e32 v3, 0xffff, v3
	v_lshlrev_b32_e32 v7, 2, v3
	ds_bpermute_b32 v4, v7, v1 offset:20
	ds_bpermute_b32 v5, v7, v1 offset:40
	;; [unrolled: 1-line block ×4, first 2 shown]
	s_and_b32 exec_lo, exec_lo, vcc_lo
	s_cbranch_execz .LBB14_20
; %bb.19:
	s_waitcnt lgkmcnt(3)
	v_mad_u64_u32 v[2:3], null, v2, 5, v[3:4]
	v_add_f32_e32 v1, v1, v4
	s_waitcnt lgkmcnt(2)
	v_add_f32_e32 v1, v1, v5
	v_ashrrev_i32_e32 v3, 31, v2
	s_waitcnt lgkmcnt(1)
	v_add_f32_e32 v1, v1, v6
	v_lshlrev_b64 v[2:3], 2, v[2:3]
	s_waitcnt lgkmcnt(0)
	v_add_f32_e32 v1, v1, v7
	v_add_co_u32 v2, vcc_lo, s6, v2
	v_add_co_ci_u32_e64 v3, null, s7, v3, vcc_lo
	global_load_dword v0, v[2:3], off
	s_waitcnt vmcnt(0)
	v_mul_f32_e32 v0, s12, v0
	v_fmac_f32_e32 v0, s2, v1
	global_store_dword v[2:3], v0, off
.LBB14_20:
	s_endpgm
	.section	.rodata,"a",@progbits
	.p2align	6, 0x0
	.amdhsa_kernel _ZN9rocsparseL19sbsrxmvn_5x5_kernelILj256EL20rocsparse_direction_1EllEEvT2_NS_24const_host_device_scalarIfEES2_PKS2_PKT1_S9_S6_PKfSB_S4_Pf21rocsparse_index_base_b
		.amdhsa_group_segment_fixed_size 0
		.amdhsa_private_segment_fixed_size 0
		.amdhsa_kernarg_size 352
		.amdhsa_user_sgpr_count 6
		.amdhsa_user_sgpr_private_segment_buffer 1
		.amdhsa_user_sgpr_dispatch_ptr 0
		.amdhsa_user_sgpr_queue_ptr 0
		.amdhsa_user_sgpr_kernarg_segment_ptr 1
		.amdhsa_user_sgpr_dispatch_id 0
		.amdhsa_user_sgpr_flat_scratch_init 0
		.amdhsa_user_sgpr_private_segment_size 0
		.amdhsa_wavefront_size32 1
		.amdhsa_uses_dynamic_stack 0
		.amdhsa_system_sgpr_private_segment_wavefront_offset 0
		.amdhsa_system_sgpr_workgroup_id_x 1
		.amdhsa_system_sgpr_workgroup_id_y 0
		.amdhsa_system_sgpr_workgroup_id_z 0
		.amdhsa_system_sgpr_workgroup_info 0
		.amdhsa_system_vgpr_workitem_id 1
		.amdhsa_next_free_vgpr 29
		.amdhsa_next_free_sgpr 16
		.amdhsa_reserve_vcc 1
		.amdhsa_reserve_flat_scratch 0
		.amdhsa_float_round_mode_32 0
		.amdhsa_float_round_mode_16_64 0
		.amdhsa_float_denorm_mode_32 3
		.amdhsa_float_denorm_mode_16_64 3
		.amdhsa_dx10_clamp 1
		.amdhsa_ieee_mode 1
		.amdhsa_fp16_overflow 0
		.amdhsa_workgroup_processor_mode 1
		.amdhsa_memory_ordered 1
		.amdhsa_forward_progress 1
		.amdhsa_shared_vgpr_count 0
		.amdhsa_exception_fp_ieee_invalid_op 0
		.amdhsa_exception_fp_denorm_src 0
		.amdhsa_exception_fp_ieee_div_zero 0
		.amdhsa_exception_fp_ieee_overflow 0
		.amdhsa_exception_fp_ieee_underflow 0
		.amdhsa_exception_fp_ieee_inexact 0
		.amdhsa_exception_int_div_zero 0
	.end_amdhsa_kernel
	.section	.text._ZN9rocsparseL19sbsrxmvn_5x5_kernelILj256EL20rocsparse_direction_1EllEEvT2_NS_24const_host_device_scalarIfEES2_PKS2_PKT1_S9_S6_PKfSB_S4_Pf21rocsparse_index_base_b,"axG",@progbits,_ZN9rocsparseL19sbsrxmvn_5x5_kernelILj256EL20rocsparse_direction_1EllEEvT2_NS_24const_host_device_scalarIfEES2_PKS2_PKT1_S9_S6_PKfSB_S4_Pf21rocsparse_index_base_b,comdat
.Lfunc_end14:
	.size	_ZN9rocsparseL19sbsrxmvn_5x5_kernelILj256EL20rocsparse_direction_1EllEEvT2_NS_24const_host_device_scalarIfEES2_PKS2_PKT1_S9_S6_PKfSB_S4_Pf21rocsparse_index_base_b, .Lfunc_end14-_ZN9rocsparseL19sbsrxmvn_5x5_kernelILj256EL20rocsparse_direction_1EllEEvT2_NS_24const_host_device_scalarIfEES2_PKS2_PKT1_S9_S6_PKfSB_S4_Pf21rocsparse_index_base_b
                                        ; -- End function
	.set _ZN9rocsparseL19sbsrxmvn_5x5_kernelILj256EL20rocsparse_direction_1EllEEvT2_NS_24const_host_device_scalarIfEES2_PKS2_PKT1_S9_S6_PKfSB_S4_Pf21rocsparse_index_base_b.num_vgpr, 29
	.set _ZN9rocsparseL19sbsrxmvn_5x5_kernelILj256EL20rocsparse_direction_1EllEEvT2_NS_24const_host_device_scalarIfEES2_PKS2_PKT1_S9_S6_PKfSB_S4_Pf21rocsparse_index_base_b.num_agpr, 0
	.set _ZN9rocsparseL19sbsrxmvn_5x5_kernelILj256EL20rocsparse_direction_1EllEEvT2_NS_24const_host_device_scalarIfEES2_PKS2_PKT1_S9_S6_PKfSB_S4_Pf21rocsparse_index_base_b.numbered_sgpr, 16
	.set _ZN9rocsparseL19sbsrxmvn_5x5_kernelILj256EL20rocsparse_direction_1EllEEvT2_NS_24const_host_device_scalarIfEES2_PKS2_PKT1_S9_S6_PKfSB_S4_Pf21rocsparse_index_base_b.num_named_barrier, 0
	.set _ZN9rocsparseL19sbsrxmvn_5x5_kernelILj256EL20rocsparse_direction_1EllEEvT2_NS_24const_host_device_scalarIfEES2_PKS2_PKT1_S9_S6_PKfSB_S4_Pf21rocsparse_index_base_b.private_seg_size, 0
	.set _ZN9rocsparseL19sbsrxmvn_5x5_kernelILj256EL20rocsparse_direction_1EllEEvT2_NS_24const_host_device_scalarIfEES2_PKS2_PKT1_S9_S6_PKfSB_S4_Pf21rocsparse_index_base_b.uses_vcc, 1
	.set _ZN9rocsparseL19sbsrxmvn_5x5_kernelILj256EL20rocsparse_direction_1EllEEvT2_NS_24const_host_device_scalarIfEES2_PKS2_PKT1_S9_S6_PKfSB_S4_Pf21rocsparse_index_base_b.uses_flat_scratch, 0
	.set _ZN9rocsparseL19sbsrxmvn_5x5_kernelILj256EL20rocsparse_direction_1EllEEvT2_NS_24const_host_device_scalarIfEES2_PKS2_PKT1_S9_S6_PKfSB_S4_Pf21rocsparse_index_base_b.has_dyn_sized_stack, 0
	.set _ZN9rocsparseL19sbsrxmvn_5x5_kernelILj256EL20rocsparse_direction_1EllEEvT2_NS_24const_host_device_scalarIfEES2_PKS2_PKT1_S9_S6_PKfSB_S4_Pf21rocsparse_index_base_b.has_recursion, 0
	.set _ZN9rocsparseL19sbsrxmvn_5x5_kernelILj256EL20rocsparse_direction_1EllEEvT2_NS_24const_host_device_scalarIfEES2_PKS2_PKT1_S9_S6_PKfSB_S4_Pf21rocsparse_index_base_b.has_indirect_call, 0
	.section	.AMDGPU.csdata,"",@progbits
; Kernel info:
; codeLenInByte = 1404
; TotalNumSgprs: 18
; NumVgprs: 29
; ScratchSize: 0
; MemoryBound: 0
; FloatMode: 240
; IeeeMode: 1
; LDSByteSize: 0 bytes/workgroup (compile time only)
; SGPRBlocks: 0
; VGPRBlocks: 3
; NumSGPRsForWavesPerEU: 18
; NumVGPRsForWavesPerEU: 29
; Occupancy: 16
; WaveLimiterHint : 1
; COMPUTE_PGM_RSRC2:SCRATCH_EN: 0
; COMPUTE_PGM_RSRC2:USER_SGPR: 6
; COMPUTE_PGM_RSRC2:TRAP_HANDLER: 0
; COMPUTE_PGM_RSRC2:TGID_X_EN: 1
; COMPUTE_PGM_RSRC2:TGID_Y_EN: 0
; COMPUTE_PGM_RSRC2:TGID_Z_EN: 0
; COMPUTE_PGM_RSRC2:TIDIG_COMP_CNT: 1
	.section	.text._ZN9rocsparseL18bsrxmvn_5x5_kernelILj50EdlldddEEvT2_20rocsparse_direction_NS_24const_host_device_scalarIT0_EES1_PKS1_PKT1_SA_S7_PKT3_PKT4_S5_PT5_21rocsparse_index_base_b,"axG",@progbits,_ZN9rocsparseL18bsrxmvn_5x5_kernelILj50EdlldddEEvT2_20rocsparse_direction_NS_24const_host_device_scalarIT0_EES1_PKS1_PKT1_SA_S7_PKT3_PKT4_S5_PT5_21rocsparse_index_base_b,comdat
	.globl	_ZN9rocsparseL18bsrxmvn_5x5_kernelILj50EdlldddEEvT2_20rocsparse_direction_NS_24const_host_device_scalarIT0_EES1_PKS1_PKT1_SA_S7_PKT3_PKT4_S5_PT5_21rocsparse_index_base_b ; -- Begin function _ZN9rocsparseL18bsrxmvn_5x5_kernelILj50EdlldddEEvT2_20rocsparse_direction_NS_24const_host_device_scalarIT0_EES1_PKS1_PKT1_SA_S7_PKT3_PKT4_S5_PT5_21rocsparse_index_base_b
	.p2align	8
	.type	_ZN9rocsparseL18bsrxmvn_5x5_kernelILj50EdlldddEEvT2_20rocsparse_direction_NS_24const_host_device_scalarIT0_EES1_PKS1_PKT1_SA_S7_PKT3_PKT4_S5_PT5_21rocsparse_index_base_b,@function
_ZN9rocsparseL18bsrxmvn_5x5_kernelILj50EdlldddEEvT2_20rocsparse_direction_NS_24const_host_device_scalarIT0_EES1_PKS1_PKT1_SA_S7_PKT3_PKT4_S5_PT5_21rocsparse_index_base_b: ; @_ZN9rocsparseL18bsrxmvn_5x5_kernelILj50EdlldddEEvT2_20rocsparse_direction_NS_24const_host_device_scalarIT0_EES1_PKS1_PKT1_SA_S7_PKT3_PKT4_S5_PT5_21rocsparse_index_base_b
; %bb.0:
	s_clause 0x2
	s_load_dwordx2 s[12:13], s[4:5], 0x60
	s_load_dwordx2 s[2:3], s[4:5], 0x10
	;; [unrolled: 1-line block ×3, first 2 shown]
	s_waitcnt lgkmcnt(0)
	s_bitcmp1_b32 s13, 0
	v_mov_b32_e32 v5, s3
	v_mov_b32_e32 v4, s2
	s_cselect_b32 s7, -1, 0
	s_and_b32 vcc_lo, exec_lo, s7
	s_xor_b32 s7, s7, -1
	s_cbranch_vccnz .LBB15_2
; %bb.1:
	v_mov_b32_e32 v1, s2
	v_mov_b32_e32 v2, s3
	flat_load_dwordx2 v[4:5], v[1:2]
.LBB15_2:
	v_mov_b32_e32 v3, s1
	v_mov_b32_e32 v2, s0
	s_andn2_b32 vcc_lo, exec_lo, s7
	s_cbranch_vccnz .LBB15_4
; %bb.3:
	v_mov_b32_e32 v2, s1
	v_mov_b32_e32 v1, s0
	flat_load_dwordx2 v[2:3], v[1:2]
.LBB15_4:
	s_waitcnt vmcnt(0) lgkmcnt(0)
	v_cmp_neq_f64_e32 vcc_lo, 0, v[4:5]
	v_cmp_neq_f64_e64 s0, 1.0, v[2:3]
	s_or_b32 s0, vcc_lo, s0
	s_and_saveexec_b32 s1, s0
	s_cbranch_execz .LBB15_40
; %bb.5:
	s_clause 0x1
	s_load_dwordx4 s[0:3], s[4:5], 0x20
	s_load_dwordx2 s[8:9], s[4:5], 0x30
	s_mov_b32 s7, 0
	s_waitcnt lgkmcnt(0)
	s_cmp_eq_u64 s[0:1], 0
	s_cbranch_scc1 .LBB15_7
; %bb.6:
	s_lshl_b64 s[6:7], s[6:7], 3
	s_add_u32 s0, s0, s6
	s_addc_u32 s1, s1, s7
	s_load_dwordx2 s[0:1], s[0:1], 0x0
	s_waitcnt lgkmcnt(0)
	s_sub_u32 s6, s0, s12
	s_subb_u32 s7, s1, 0
.LBB15_7:
	s_load_dword s1, s[4:5], 0x8
	v_mul_u32_u24_e32 v1, 0x3334, v0
	v_lshrrev_b32_e32 v9, 16, v1
	v_mul_lo_u16 v6, v9, 5
	s_waitcnt lgkmcnt(0)
	s_cmp_eq_u32 s1, 1
	s_cselect_b32 s0, -1, 0
	s_cmp_lg_u32 s1, 1
	s_cselect_b32 s13, -1, 0
	s_lshl_b64 s[10:11], s[6:7], 3
	s_add_u32 s2, s2, s10
	s_addc_u32 s3, s3, s11
	s_add_u32 s1, s2, 8
	s_addc_u32 s14, s3, 0
	s_add_u32 s10, s8, s10
	s_addc_u32 s11, s9, s11
	s_cmp_eq_u64 s[8:9], 0
	s_cselect_b32 s9, s14, s11
	s_cselect_b32 s8, s1, s10
	s_load_dwordx2 s[14:15], s[2:3], 0x0
	s_load_dwordx2 s[16:17], s[8:9], 0x0
	s_waitcnt lgkmcnt(0)
	v_cmp_lt_i64_e64 s1, s[14:15], s[16:17]
	s_and_b32 vcc_lo, exec_lo, s1
	s_cbranch_vccnz .LBB15_9
; %bb.8:
	v_mov_b32_e32 v1, 0
	s_mov_b32 s1, 0
	s_branch .LBB15_10
.LBB15_9:
	s_mov_b32 s1, -1
.LBB15_10:
	s_load_dwordx2 s[2:3], s[4:5], 0x58
	v_mov_b32_e32 v7, 0
	v_sub_nc_u16 v15, v0, v6
	v_mov_b32_e32 v8, 0
	v_lshlrev_b32_e32 v6, 3, v0
	s_andn2_b32 vcc_lo, exec_lo, s1
	s_cbranch_vccnz .LBB15_15
; %bb.11:
	v_mul_lo_u16 v1, v9, 52
	v_mov_b32_e32 v7, 0xa3e
	s_clause 0x1
	s_load_dwordx4 s[8:11], s[4:5], 0x38
	s_load_dwordx2 s[18:19], s[4:5], 0x48
	s_mul_i32 s5, s12, 0xc8
	s_mul_hi_u32 s1, s12, 0xc8
	v_lshrrev_b16 v1, 8, v1
	v_mul_u32_u24_sdwa v10, v0, v7 dst_sel:DWORD dst_unused:UNUSED_PAD src0_sel:WORD_0 src1_sel:DWORD
	s_sub_u32 s4, s16, s12
	v_mul_lo_u16 v8, v1, 5
	v_mov_b32_e32 v1, 0
	v_lshrrev_b32_e32 v16, 16, v10
	v_sub_nc_u16 v8, v9, v8
	v_mov_b32_e32 v7, v1
	v_and_b32_e32 v9, 0xffff, v15
	v_and_b32_e32 v10, 0xff, v8
	v_mad_u64_u32 v[7:8], null, 0xc8, s14, v[6:7]
	v_cndmask_b32_e64 v9, v9, v10, s0
	v_add_co_u32 v10, s0, s14, v16
	v_add_co_ci_u32_e64 v12, null, s15, 0, s0
	v_lshlrev_b32_e32 v13, 3, v9
	v_sub_co_u32 v11, vcc_lo, v10, s12
	v_mad_u64_u32 v[8:9], null, 0xc8, s15, v[8:9]
	v_subrev_co_ci_u32_e64 v12, null, 0, v12, vcc_lo
	v_sub_co_u32 v7, vcc_lo, v7, s5
	s_waitcnt lgkmcnt(0)
	v_add_co_u32 v9, s0, s18, v13
	v_lshlrev_b64 v[13:14], 3, v[11:12]
	v_subrev_co_ci_u32_e64 v8, null, s1, v8, vcc_lo
	v_add_co_u32 v11, vcc_lo, s10, v7
	v_add_co_ci_u32_e64 v10, null, s19, 0, s0
	v_add_co_ci_u32_e64 v12, null, s11, v8, vcc_lo
	v_add_co_u32 v13, vcc_lo, s8, v13
	v_mov_b32_e32 v7, 0
	v_mov_b32_e32 v8, 0
	v_add_co_ci_u32_e64 v14, null, s9, v14, vcc_lo
	s_subb_u32 s5, s17, 0
	s_sub_u32 s0, s14, s12
	s_subb_u32 s1, s15, 0
	s_inst_prefetch 0x1
	s_branch .LBB15_13
	.p2align	6
.LBB15_12:                              ;   in Loop: Header=BB15_13 Depth=1
	s_or_b32 exec_lo, exec_lo, s8
	s_add_u32 s0, s0, 2
	s_addc_u32 s1, s1, 0
	v_add_co_u32 v11, vcc_lo, 0x190, v11
	v_cmp_ge_i64_e64 s8, s[0:1], s[4:5]
	v_add_co_ci_u32_e64 v12, null, 0, v12, vcc_lo
	v_add_co_u32 v13, vcc_lo, v13, 16
	v_add_co_ci_u32_e64 v14, null, 0, v14, vcc_lo
	s_and_b32 vcc_lo, exec_lo, s8
	s_cbranch_vccnz .LBB15_15
.LBB15_13:                              ; =>This Inner Loop Header: Depth=1
	v_add_co_u32 v17, s8, v16, s0
	v_add_co_ci_u32_e64 v18, null, 0, s1, s8
	s_mov_b32 s8, exec_lo
	v_cmpx_gt_i64_e64 s[4:5], v[17:18]
	s_cbranch_execz .LBB15_12
; %bb.14:                               ;   in Loop: Header=BB15_13 Depth=1
	global_load_dwordx2 v[17:18], v[13:14], off
	s_waitcnt vmcnt(0)
	v_sub_co_u32 v17, vcc_lo, v17, s12
	v_subrev_co_ci_u32_e64 v19, null, 0, v18, vcc_lo
	v_mad_u64_u32 v[17:18], null, v17, 40, v[9:10]
	v_mad_u64_u32 v[18:19], null, v19, 40, v[18:19]
	global_load_dwordx2 v[19:20], v[11:12], off
	global_load_dwordx2 v[17:18], v[17:18], off
	s_waitcnt vmcnt(0)
	v_fma_f64 v[7:8], v[19:20], v[17:18], v[7:8]
	s_branch .LBB15_12
.LBB15_15:
	s_inst_prefetch 0x2
	s_and_b32 vcc_lo, exec_lo, s13
	ds_write_b64 v6, v[7:8]
	s_waitcnt lgkmcnt(0)
	buffer_gl0_inv
	s_cbranch_vccz .LBB15_25
; %bb.16:
	s_mov_b32 s0, exec_lo
	v_cmpx_gt_u32_e32 25, v0
	s_cbranch_execz .LBB15_18
; %bb.17:
	ds_read2_b64 v[9:12], v6 offset1:25
	s_waitcnt lgkmcnt(0)
	v_add_f64 v[9:10], v[11:12], v[9:10]
	ds_write_b64 v6, v[9:10]
.LBB15_18:
	s_or_b32 exec_lo, exec_lo, s0
	s_mov_b32 s0, exec_lo
	s_waitcnt lgkmcnt(0)
	buffer_gl0_inv
	v_cmpx_eq_u16_e32 0, v15
	s_cbranch_execz .LBB15_20
; %bb.19:
	ds_read2_b64 v[9:12], v6 offset1:4
	s_waitcnt lgkmcnt(0)
	v_add_f64 v[9:10], v[11:12], v[9:10]
	ds_write_b64 v6, v[9:10]
.LBB15_20:
	s_or_b32 exec_lo, exec_lo, s0
	s_mov_b32 s0, exec_lo
	s_waitcnt lgkmcnt(0)
	buffer_gl0_inv
	v_cmpx_gt_u16_e32 2, v15
	s_cbranch_execz .LBB15_22
; %bb.21:
	ds_read2_b64 v[9:12], v6 offset1:2
	s_waitcnt lgkmcnt(0)
	v_add_f64 v[9:10], v[11:12], v[9:10]
	ds_write_b64 v6, v[9:10]
.LBB15_22:
	s_or_b32 exec_lo, exec_lo, s0
	v_mov_b32_e32 v10, v8
	v_mov_b32_e32 v9, v7
	s_mov_b32 s0, exec_lo
	s_waitcnt lgkmcnt(0)
	buffer_gl0_inv
	v_cmpx_gt_u32_e32 5, v0
	s_cbranch_execz .LBB15_24
; %bb.23:
	v_lshl_add_u32 v9, v0, 5, v6
	ds_read2_b64 v[9:12], v9 offset1:1
	s_waitcnt lgkmcnt(0)
	v_add_f64 v[9:10], v[9:10], v[11:12]
.LBB15_24:
	s_or_b32 exec_lo, exec_lo, s0
	s_branch .LBB15_35
.LBB15_25:
                                        ; implicit-def: $vgpr9_vgpr10
	s_cbranch_execz .LBB15_35
; %bb.26:
	v_cmp_gt_u32_e32 vcc_lo, 10, v0
	s_and_saveexec_b32 s0, vcc_lo
	s_cbranch_execz .LBB15_28
; %bb.27:
	ds_read2_b64 v[9:12], v6 offset1:40
	s_waitcnt lgkmcnt(0)
	v_add_f64 v[9:10], v[11:12], v[9:10]
	ds_write_b64 v6, v[9:10]
.LBB15_28:
	s_or_b32 exec_lo, exec_lo, s0
	s_mov_b32 s1, exec_lo
	s_waitcnt lgkmcnt(0)
	buffer_gl0_inv
	v_cmpx_gt_u32_e32 20, v0
	s_cbranch_execz .LBB15_30
; %bb.29:
	ds_read2_b64 v[9:12], v6 offset1:20
	s_waitcnt lgkmcnt(0)
	v_add_f64 v[9:10], v[11:12], v[9:10]
	ds_write_b64 v6, v[9:10]
.LBB15_30:
	s_or_b32 exec_lo, exec_lo, s1
	s_waitcnt lgkmcnt(0)
	buffer_gl0_inv
	s_and_saveexec_b32 s0, vcc_lo
	s_cbranch_execz .LBB15_32
; %bb.31:
	ds_read2_b64 v[9:12], v6 offset1:10
	s_waitcnt lgkmcnt(0)
	v_add_f64 v[9:10], v[11:12], v[9:10]
	ds_write_b64 v6, v[9:10]
.LBB15_32:
	s_or_b32 exec_lo, exec_lo, s0
	s_mov_b32 s0, exec_lo
	s_waitcnt lgkmcnt(0)
	buffer_gl0_inv
	v_cmpx_gt_u32_e32 5, v0
	s_cbranch_execz .LBB15_34
; %bb.33:
	ds_read2_b64 v[6:9], v6 offset1:5
	s_waitcnt lgkmcnt(0)
	v_add_f64 v[7:8], v[6:7], v[8:9]
.LBB15_34:
	s_or_b32 exec_lo, exec_lo, s0
	v_mov_b32_e32 v10, v8
	v_mov_b32_e32 v9, v7
.LBB15_35:
	v_cmp_gt_u32_e32 vcc_lo, 5, v0
	s_and_b32 exec_lo, exec_lo, vcc_lo
	s_cbranch_execz .LBB15_40
; %bb.36:
	v_mul_f64 v[4:5], v[4:5], v[9:10]
	v_lshlrev_b64 v[0:1], 3, v[0:1]
	s_mul_i32 s0, s7, 40
	s_mul_hi_u32 s1, s6, 40
	s_mul_i32 s4, s6, 40
	s_mov_b32 s5, exec_lo
	v_cmpx_eq_f64_e32 0, v[2:3]
	s_xor_b32 s5, exec_lo, s5
	s_cbranch_execz .LBB15_38
; %bb.37:
	s_add_i32 s6, s1, s0
	s_add_u32 s7, s2, s4
	s_addc_u32 s6, s3, s6
	v_add_co_u32 v0, vcc_lo, s7, v0
	v_add_co_ci_u32_e64 v1, null, s6, v1, vcc_lo
                                        ; implicit-def: $vgpr2_vgpr3
	global_store_dwordx2 v[0:1], v[4:5], off
                                        ; implicit-def: $vgpr0_vgpr1
                                        ; implicit-def: $vgpr4_vgpr5
.LBB15_38:
	s_andn2_saveexec_b32 s5, s5
	s_cbranch_execz .LBB15_40
; %bb.39:
	s_add_i32 s1, s1, s0
	s_add_u32 s0, s2, s4
	s_addc_u32 s1, s3, s1
	v_add_co_u32 v0, vcc_lo, s0, v0
	v_add_co_ci_u32_e64 v1, null, s1, v1, vcc_lo
	global_load_dwordx2 v[6:7], v[0:1], off
	s_waitcnt vmcnt(0)
	v_fma_f64 v[2:3], v[2:3], v[6:7], v[4:5]
	global_store_dwordx2 v[0:1], v[2:3], off
.LBB15_40:
	s_endpgm
	.section	.rodata,"a",@progbits
	.p2align	6, 0x0
	.amdhsa_kernel _ZN9rocsparseL18bsrxmvn_5x5_kernelILj50EdlldddEEvT2_20rocsparse_direction_NS_24const_host_device_scalarIT0_EES1_PKS1_PKT1_SA_S7_PKT3_PKT4_S5_PT5_21rocsparse_index_base_b
		.amdhsa_group_segment_fixed_size 400
		.amdhsa_private_segment_fixed_size 0
		.amdhsa_kernarg_size 104
		.amdhsa_user_sgpr_count 6
		.amdhsa_user_sgpr_private_segment_buffer 1
		.amdhsa_user_sgpr_dispatch_ptr 0
		.amdhsa_user_sgpr_queue_ptr 0
		.amdhsa_user_sgpr_kernarg_segment_ptr 1
		.amdhsa_user_sgpr_dispatch_id 0
		.amdhsa_user_sgpr_flat_scratch_init 0
		.amdhsa_user_sgpr_private_segment_size 0
		.amdhsa_wavefront_size32 1
		.amdhsa_uses_dynamic_stack 0
		.amdhsa_system_sgpr_private_segment_wavefront_offset 0
		.amdhsa_system_sgpr_workgroup_id_x 1
		.amdhsa_system_sgpr_workgroup_id_y 0
		.amdhsa_system_sgpr_workgroup_id_z 0
		.amdhsa_system_sgpr_workgroup_info 0
		.amdhsa_system_vgpr_workitem_id 0
		.amdhsa_next_free_vgpr 21
		.amdhsa_next_free_sgpr 20
		.amdhsa_reserve_vcc 1
		.amdhsa_reserve_flat_scratch 0
		.amdhsa_float_round_mode_32 0
		.amdhsa_float_round_mode_16_64 0
		.amdhsa_float_denorm_mode_32 3
		.amdhsa_float_denorm_mode_16_64 3
		.amdhsa_dx10_clamp 1
		.amdhsa_ieee_mode 1
		.amdhsa_fp16_overflow 0
		.amdhsa_workgroup_processor_mode 1
		.amdhsa_memory_ordered 1
		.amdhsa_forward_progress 1
		.amdhsa_shared_vgpr_count 0
		.amdhsa_exception_fp_ieee_invalid_op 0
		.amdhsa_exception_fp_denorm_src 0
		.amdhsa_exception_fp_ieee_div_zero 0
		.amdhsa_exception_fp_ieee_overflow 0
		.amdhsa_exception_fp_ieee_underflow 0
		.amdhsa_exception_fp_ieee_inexact 0
		.amdhsa_exception_int_div_zero 0
	.end_amdhsa_kernel
	.section	.text._ZN9rocsparseL18bsrxmvn_5x5_kernelILj50EdlldddEEvT2_20rocsparse_direction_NS_24const_host_device_scalarIT0_EES1_PKS1_PKT1_SA_S7_PKT3_PKT4_S5_PT5_21rocsparse_index_base_b,"axG",@progbits,_ZN9rocsparseL18bsrxmvn_5x5_kernelILj50EdlldddEEvT2_20rocsparse_direction_NS_24const_host_device_scalarIT0_EES1_PKS1_PKT1_SA_S7_PKT3_PKT4_S5_PT5_21rocsparse_index_base_b,comdat
.Lfunc_end15:
	.size	_ZN9rocsparseL18bsrxmvn_5x5_kernelILj50EdlldddEEvT2_20rocsparse_direction_NS_24const_host_device_scalarIT0_EES1_PKS1_PKT1_SA_S7_PKT3_PKT4_S5_PT5_21rocsparse_index_base_b, .Lfunc_end15-_ZN9rocsparseL18bsrxmvn_5x5_kernelILj50EdlldddEEvT2_20rocsparse_direction_NS_24const_host_device_scalarIT0_EES1_PKS1_PKT1_SA_S7_PKT3_PKT4_S5_PT5_21rocsparse_index_base_b
                                        ; -- End function
	.set _ZN9rocsparseL18bsrxmvn_5x5_kernelILj50EdlldddEEvT2_20rocsparse_direction_NS_24const_host_device_scalarIT0_EES1_PKS1_PKT1_SA_S7_PKT3_PKT4_S5_PT5_21rocsparse_index_base_b.num_vgpr, 21
	.set _ZN9rocsparseL18bsrxmvn_5x5_kernelILj50EdlldddEEvT2_20rocsparse_direction_NS_24const_host_device_scalarIT0_EES1_PKS1_PKT1_SA_S7_PKT3_PKT4_S5_PT5_21rocsparse_index_base_b.num_agpr, 0
	.set _ZN9rocsparseL18bsrxmvn_5x5_kernelILj50EdlldddEEvT2_20rocsparse_direction_NS_24const_host_device_scalarIT0_EES1_PKS1_PKT1_SA_S7_PKT3_PKT4_S5_PT5_21rocsparse_index_base_b.numbered_sgpr, 20
	.set _ZN9rocsparseL18bsrxmvn_5x5_kernelILj50EdlldddEEvT2_20rocsparse_direction_NS_24const_host_device_scalarIT0_EES1_PKS1_PKT1_SA_S7_PKT3_PKT4_S5_PT5_21rocsparse_index_base_b.num_named_barrier, 0
	.set _ZN9rocsparseL18bsrxmvn_5x5_kernelILj50EdlldddEEvT2_20rocsparse_direction_NS_24const_host_device_scalarIT0_EES1_PKS1_PKT1_SA_S7_PKT3_PKT4_S5_PT5_21rocsparse_index_base_b.private_seg_size, 0
	.set _ZN9rocsparseL18bsrxmvn_5x5_kernelILj50EdlldddEEvT2_20rocsparse_direction_NS_24const_host_device_scalarIT0_EES1_PKS1_PKT1_SA_S7_PKT3_PKT4_S5_PT5_21rocsparse_index_base_b.uses_vcc, 1
	.set _ZN9rocsparseL18bsrxmvn_5x5_kernelILj50EdlldddEEvT2_20rocsparse_direction_NS_24const_host_device_scalarIT0_EES1_PKS1_PKT1_SA_S7_PKT3_PKT4_S5_PT5_21rocsparse_index_base_b.uses_flat_scratch, 0
	.set _ZN9rocsparseL18bsrxmvn_5x5_kernelILj50EdlldddEEvT2_20rocsparse_direction_NS_24const_host_device_scalarIT0_EES1_PKS1_PKT1_SA_S7_PKT3_PKT4_S5_PT5_21rocsparse_index_base_b.has_dyn_sized_stack, 0
	.set _ZN9rocsparseL18bsrxmvn_5x5_kernelILj50EdlldddEEvT2_20rocsparse_direction_NS_24const_host_device_scalarIT0_EES1_PKS1_PKT1_SA_S7_PKT3_PKT4_S5_PT5_21rocsparse_index_base_b.has_recursion, 0
	.set _ZN9rocsparseL18bsrxmvn_5x5_kernelILj50EdlldddEEvT2_20rocsparse_direction_NS_24const_host_device_scalarIT0_EES1_PKS1_PKT1_SA_S7_PKT3_PKT4_S5_PT5_21rocsparse_index_base_b.has_indirect_call, 0
	.section	.AMDGPU.csdata,"",@progbits
; Kernel info:
; codeLenInByte = 1504
; TotalNumSgprs: 22
; NumVgprs: 21
; ScratchSize: 0
; MemoryBound: 1
; FloatMode: 240
; IeeeMode: 1
; LDSByteSize: 400 bytes/workgroup (compile time only)
; SGPRBlocks: 0
; VGPRBlocks: 2
; NumSGPRsForWavesPerEU: 22
; NumVGPRsForWavesPerEU: 21
; Occupancy: 16
; WaveLimiterHint : 1
; COMPUTE_PGM_RSRC2:SCRATCH_EN: 0
; COMPUTE_PGM_RSRC2:USER_SGPR: 6
; COMPUTE_PGM_RSRC2:TRAP_HANDLER: 0
; COMPUTE_PGM_RSRC2:TGID_X_EN: 1
; COMPUTE_PGM_RSRC2:TGID_Y_EN: 0
; COMPUTE_PGM_RSRC2:TGID_Z_EN: 0
; COMPUTE_PGM_RSRC2:TIDIG_COMP_CNT: 0
	.section	.text._ZN9rocsparseL18bsrxmvn_5x5_kernelILj50E21rocsparse_complex_numIfEllS2_S2_S2_EEvT2_20rocsparse_direction_NS_24const_host_device_scalarIT0_EES3_PKS3_PKT1_SC_S9_PKT3_PKT4_S7_PT5_21rocsparse_index_base_b,"axG",@progbits,_ZN9rocsparseL18bsrxmvn_5x5_kernelILj50E21rocsparse_complex_numIfEllS2_S2_S2_EEvT2_20rocsparse_direction_NS_24const_host_device_scalarIT0_EES3_PKS3_PKT1_SC_S9_PKT3_PKT4_S7_PT5_21rocsparse_index_base_b,comdat
	.globl	_ZN9rocsparseL18bsrxmvn_5x5_kernelILj50E21rocsparse_complex_numIfEllS2_S2_S2_EEvT2_20rocsparse_direction_NS_24const_host_device_scalarIT0_EES3_PKS3_PKT1_SC_S9_PKT3_PKT4_S7_PT5_21rocsparse_index_base_b ; -- Begin function _ZN9rocsparseL18bsrxmvn_5x5_kernelILj50E21rocsparse_complex_numIfEllS2_S2_S2_EEvT2_20rocsparse_direction_NS_24const_host_device_scalarIT0_EES3_PKS3_PKT1_SC_S9_PKT3_PKT4_S7_PT5_21rocsparse_index_base_b
	.p2align	8
	.type	_ZN9rocsparseL18bsrxmvn_5x5_kernelILj50E21rocsparse_complex_numIfEllS2_S2_S2_EEvT2_20rocsparse_direction_NS_24const_host_device_scalarIT0_EES3_PKS3_PKT1_SC_S9_PKT3_PKT4_S7_PT5_21rocsparse_index_base_b,@function
_ZN9rocsparseL18bsrxmvn_5x5_kernelILj50E21rocsparse_complex_numIfEllS2_S2_S2_EEvT2_20rocsparse_direction_NS_24const_host_device_scalarIT0_EES3_PKS3_PKT1_SC_S9_PKT3_PKT4_S7_PT5_21rocsparse_index_base_b: ; @_ZN9rocsparseL18bsrxmvn_5x5_kernelILj50E21rocsparse_complex_numIfEllS2_S2_S2_EEvT2_20rocsparse_direction_NS_24const_host_device_scalarIT0_EES3_PKS3_PKT1_SC_S9_PKT3_PKT4_S7_PT5_21rocsparse_index_base_b
; %bb.0:
	s_clause 0x2
	s_load_dwordx2 s[8:9], s[4:5], 0x60
	s_load_dwordx2 s[0:1], s[4:5], 0x10
	s_load_dwordx2 s[2:3], s[4:5], 0x50
	s_add_u32 s7, s4, 16
	s_addc_u32 s10, s5, 0
	s_add_u32 s11, s4, 0x50
	s_addc_u32 s12, s5, 0
	s_waitcnt lgkmcnt(0)
	s_bitcmp1_b32 s9, 0
	s_cselect_b32 s0, s7, s0
	s_cselect_b32 s1, s10, s1
	v_mov_b32_e32 v1, s0
	v_mov_b32_e32 v2, s1
	s_cselect_b32 s0, s11, s2
	s_cselect_b32 s1, s12, s3
	flat_load_dwordx2 v[4:5], v[1:2]
	v_mov_b32_e32 v1, s0
	v_mov_b32_e32 v2, s1
	flat_load_dwordx2 v[2:3], v[1:2]
	s_waitcnt vmcnt(1) lgkmcnt(1)
	v_cmp_eq_f32_e32 vcc_lo, 0, v4
	v_cmp_eq_f32_e64 s0, 0, v5
	s_and_b32 s2, vcc_lo, s0
	s_mov_b32 s0, -1
	s_and_saveexec_b32 s1, s2
	s_cbranch_execz .LBB16_2
; %bb.1:
	s_waitcnt vmcnt(0) lgkmcnt(0)
	v_cmp_neq_f32_e32 vcc_lo, 1.0, v2
	v_cmp_neq_f32_e64 s0, 0, v3
	s_or_b32 s0, vcc_lo, s0
	s_orn2_b32 s0, s0, exec_lo
.LBB16_2:
	s_or_b32 exec_lo, exec_lo, s1
	s_and_saveexec_b32 s1, s0
	s_cbranch_execz .LBB16_38
; %bb.3:
	s_clause 0x1
	s_load_dwordx4 s[0:3], s[4:5], 0x20
	s_load_dwordx2 s[10:11], s[4:5], 0x30
	s_mov_b32 s7, 0
	s_waitcnt lgkmcnt(0)
	s_cmp_eq_u64 s[0:1], 0
	s_cbranch_scc1 .LBB16_5
; %bb.4:
	s_lshl_b64 s[6:7], s[6:7], 3
	s_add_u32 s0, s0, s6
	s_addc_u32 s1, s1, s7
	s_load_dwordx2 s[0:1], s[0:1], 0x0
	s_waitcnt lgkmcnt(0)
	s_sub_u32 s6, s0, s8
	s_subb_u32 s7, s1, 0
.LBB16_5:
	s_load_dword s1, s[4:5], 0x8
	v_mul_u32_u24_e32 v1, 0x3334, v0
	v_lshrrev_b32_e32 v9, 16, v1
	v_mul_lo_u16 v6, v9, 5
	s_waitcnt lgkmcnt(0)
	s_cmp_eq_u32 s1, 1
	s_cselect_b32 s0, -1, 0
	s_cmp_lg_u32 s1, 1
	s_cselect_b32 s9, -1, 0
	s_lshl_b64 s[12:13], s[6:7], 3
	s_add_u32 s2, s2, s12
	s_addc_u32 s3, s3, s13
	s_add_u32 s1, s2, 8
	s_addc_u32 s14, s3, 0
	;; [unrolled: 2-line block ×3, first 2 shown]
	s_cmp_eq_u64 s[10:11], 0
	s_cselect_b32 s13, s14, s13
	s_cselect_b32 s12, s1, s12
	s_load_dwordx2 s[10:11], s[2:3], 0x0
	s_load_dwordx2 s[12:13], s[12:13], 0x0
	s_waitcnt lgkmcnt(0)
	v_cmp_lt_i64_e64 s1, s[10:11], s[12:13]
	s_and_b32 vcc_lo, exec_lo, s1
	s_cbranch_vccnz .LBB16_7
; %bb.6:
	v_mov_b32_e32 v1, 0
	s_mov_b32 s1, 0
	s_branch .LBB16_8
.LBB16_7:
	s_mov_b32 s1, -1
.LBB16_8:
	s_load_dwordx2 s[2:3], s[4:5], 0x58
	v_sub_nc_u16 v15, v0, v6
	v_mov_b32_e32 v8, 0
	v_lshlrev_b32_e32 v6, 3, v0
	v_mov_b32_e32 v7, 0
	s_andn2_b32 vcc_lo, exec_lo, s1
	s_cbranch_vccnz .LBB16_13
; %bb.9:
	v_mul_lo_u16 v7, v9, 52
	v_mov_b32_e32 v1, 0
	v_mov_b32_e32 v10, 0xa3e
	v_and_b32_e32 v12, 0xffff, v15
	s_clause 0x1
	s_load_dwordx4 s[16:19], s[4:5], 0x38
	s_load_dwordx2 s[14:15], s[4:5], 0x48
	v_lshrrev_b16 v8, 8, v7
	v_mov_b32_e32 v7, v1
	v_mul_u32_u24_sdwa v10, v0, v10 dst_sel:DWORD dst_unused:UNUSED_PAD src0_sel:WORD_0 src1_sel:DWORD
	s_mul_i32 s5, s8, 0xc8
	s_mul_hi_u32 s1, s8, 0xc8
	v_mul_lo_u16 v11, v8, 5
	v_mad_u64_u32 v[7:8], null, 0xc8, s10, v[6:7]
	v_lshrrev_b32_e32 v16, 16, v10
	s_sub_u32 s4, s12, s8
	v_sub_nc_u16 v9, v9, v11
	v_sub_co_u32 v7, vcc_lo, v7, s5
	v_and_b32_e32 v10, 0xff, v9
	v_mad_u64_u32 v[8:9], null, 0xc8, s11, v[8:9]
	v_or_b32_e32 v13, 4, v7
	s_subb_u32 s5, s13, 0
	v_cndmask_b32_e64 v9, v12, v10, s0
	v_add_co_u32 v10, s0, s10, v16
	v_add_co_ci_u32_e64 v11, null, s11, 0, s0
	v_subrev_co_ci_u32_e64 v12, null, s1, v8, vcc_lo
	v_sub_co_u32 v7, vcc_lo, v10, s8
	v_subrev_co_ci_u32_e64 v8, null, 0, v11, vcc_lo
	v_lshlrev_b32_e32 v9, 3, v9
	s_waitcnt lgkmcnt(0)
	v_add_co_u32 v11, vcc_lo, s18, v13
	v_lshlrev_b64 v[7:8], 3, v[7:8]
	v_add_co_ci_u32_e64 v12, null, s19, v12, vcc_lo
	v_add_co_u32 v9, s0, s14, v9
	v_add_co_ci_u32_e64 v10, null, s15, 0, s0
	v_add_co_u32 v13, vcc_lo, s16, v7
	v_add_co_ci_u32_e64 v14, null, s17, v8, vcc_lo
	v_mov_b32_e32 v8, v1
	v_mov_b32_e32 v7, v1
	s_sub_u32 s0, s10, s8
	s_subb_u32 s1, s11, 0
	s_inst_prefetch 0x1
	s_branch .LBB16_11
	.p2align	6
.LBB16_10:                              ;   in Loop: Header=BB16_11 Depth=1
	s_or_b32 exec_lo, exec_lo, s10
	s_add_u32 s0, s0, 2
	s_addc_u32 s1, s1, 0
	v_add_co_u32 v11, vcc_lo, 0x190, v11
	v_cmp_ge_i64_e64 s10, s[0:1], s[4:5]
	v_add_co_ci_u32_e64 v12, null, 0, v12, vcc_lo
	v_add_co_u32 v13, vcc_lo, v13, 16
	v_add_co_ci_u32_e64 v14, null, 0, v14, vcc_lo
	s_and_b32 vcc_lo, exec_lo, s10
	s_cbranch_vccnz .LBB16_13
.LBB16_11:                              ; =>This Inner Loop Header: Depth=1
	v_add_co_u32 v17, s10, v16, s0
	v_add_co_ci_u32_e64 v18, null, 0, s1, s10
	s_mov_b32 s10, exec_lo
	v_cmpx_gt_i64_e64 s[4:5], v[17:18]
	s_cbranch_execz .LBB16_10
; %bb.12:                               ;   in Loop: Header=BB16_11 Depth=1
	global_load_dwordx2 v[17:18], v[13:14], off
	s_waitcnt vmcnt(0)
	v_sub_co_u32 v17, vcc_lo, v17, s8
	v_subrev_co_ci_u32_e64 v19, null, 0, v18, vcc_lo
	v_mad_u64_u32 v[17:18], null, v17, 40, v[9:10]
	v_mad_u64_u32 v[18:19], null, v19, 40, v[18:19]
	global_load_dwordx2 v[19:20], v[11:12], off offset:-4
	global_load_dwordx2 v[17:18], v[17:18], off
	s_waitcnt vmcnt(0)
	v_fmac_f32_e32 v7, v19, v17
	v_fmac_f32_e32 v8, v20, v17
	v_fma_f32 v7, -v20, v18, v7
	v_fmac_f32_e32 v8, v19, v18
	s_branch .LBB16_10
.LBB16_13:
	s_inst_prefetch 0x2
	s_and_b32 vcc_lo, exec_lo, s9
	ds_write_b64 v6, v[7:8]
	s_waitcnt vmcnt(0) lgkmcnt(0)
	buffer_gl0_inv
	s_cbranch_vccz .LBB16_23
; %bb.14:
	s_mov_b32 s0, exec_lo
	v_cmpx_gt_u32_e32 25, v0
	s_cbranch_execz .LBB16_16
; %bb.15:
	ds_read2_b64 v[9:12], v6 offset1:25
	s_waitcnt lgkmcnt(0)
	v_add_f32_e32 v9, v11, v9
	v_add_f32_e32 v10, v12, v10
	ds_write_b64 v6, v[9:10]
.LBB16_16:
	s_or_b32 exec_lo, exec_lo, s0
	s_mov_b32 s0, exec_lo
	s_waitcnt lgkmcnt(0)
	buffer_gl0_inv
	v_cmpx_eq_u16_e32 0, v15
	s_cbranch_execz .LBB16_18
; %bb.17:
	ds_read2_b64 v[9:12], v6 offset1:4
	s_waitcnt lgkmcnt(0)
	v_add_f32_e32 v9, v11, v9
	v_add_f32_e32 v10, v12, v10
	ds_write_b64 v6, v[9:10]
.LBB16_18:
	s_or_b32 exec_lo, exec_lo, s0
	s_mov_b32 s0, exec_lo
	s_waitcnt lgkmcnt(0)
	buffer_gl0_inv
	v_cmpx_gt_u16_e32 2, v15
	s_cbranch_execz .LBB16_20
; %bb.19:
	ds_read2_b64 v[9:12], v6 offset1:2
	s_waitcnt lgkmcnt(0)
	v_add_f32_e32 v9, v11, v9
	v_add_f32_e32 v10, v12, v10
	ds_write_b64 v6, v[9:10]
.LBB16_20:
	s_or_b32 exec_lo, exec_lo, s0
	v_mov_b32_e32 v10, v8
	v_mov_b32_e32 v9, v7
	s_mov_b32 s0, exec_lo
	s_waitcnt lgkmcnt(0)
	buffer_gl0_inv
	v_cmpx_gt_u32_e32 5, v0
	s_cbranch_execz .LBB16_22
; %bb.21:
	v_lshl_add_u32 v9, v0, 5, v6
	ds_read2_b64 v[9:12], v9 offset1:1
	s_waitcnt lgkmcnt(0)
	v_add_f32_e32 v9, v11, v9
	v_add_f32_e32 v10, v12, v10
.LBB16_22:
	s_or_b32 exec_lo, exec_lo, s0
	s_branch .LBB16_33
.LBB16_23:
                                        ; implicit-def: $vgpr10
                                        ; implicit-def: $vgpr9
	s_cbranch_execz .LBB16_33
; %bb.24:
	v_cmp_gt_u32_e32 vcc_lo, 10, v0
	s_and_saveexec_b32 s0, vcc_lo
	s_cbranch_execz .LBB16_26
; %bb.25:
	ds_read2_b64 v[9:12], v6 offset1:40
	s_waitcnt lgkmcnt(0)
	v_add_f32_e32 v9, v11, v9
	v_add_f32_e32 v10, v12, v10
	ds_write_b64 v6, v[9:10]
.LBB16_26:
	s_or_b32 exec_lo, exec_lo, s0
	s_mov_b32 s1, exec_lo
	s_waitcnt lgkmcnt(0)
	buffer_gl0_inv
	v_cmpx_gt_u32_e32 20, v0
	s_cbranch_execz .LBB16_28
; %bb.27:
	ds_read2_b64 v[9:12], v6 offset1:20
	s_waitcnt lgkmcnt(0)
	v_add_f32_e32 v9, v11, v9
	v_add_f32_e32 v10, v12, v10
	ds_write_b64 v6, v[9:10]
.LBB16_28:
	s_or_b32 exec_lo, exec_lo, s1
	s_waitcnt lgkmcnt(0)
	buffer_gl0_inv
	s_and_saveexec_b32 s0, vcc_lo
	s_cbranch_execz .LBB16_30
; %bb.29:
	ds_read2_b64 v[9:12], v6 offset1:10
	s_waitcnt lgkmcnt(0)
	v_add_f32_e32 v9, v11, v9
	v_add_f32_e32 v10, v12, v10
	ds_write_b64 v6, v[9:10]
.LBB16_30:
	s_or_b32 exec_lo, exec_lo, s0
	s_mov_b32 s0, exec_lo
	s_waitcnt lgkmcnt(0)
	buffer_gl0_inv
	v_cmpx_gt_u32_e32 5, v0
	s_cbranch_execz .LBB16_32
; %bb.31:
	ds_read2_b64 v[7:10], v6 offset1:5
	s_waitcnt lgkmcnt(0)
	v_add_f32_e32 v7, v9, v7
	v_add_f32_e32 v8, v10, v8
.LBB16_32:
	s_or_b32 exec_lo, exec_lo, s0
	v_mov_b32_e32 v10, v8
	v_mov_b32_e32 v9, v7
.LBB16_33:
	v_cmp_gt_u32_e32 vcc_lo, 5, v0
	s_and_b32 exec_lo, exec_lo, vcc_lo
	s_cbranch_execz .LBB16_38
; %bb.34:
	v_mul_f32_e64 v6, v10, -v5
	v_mul_f32_e32 v7, v4, v10
	v_cmp_eq_f32_e32 vcc_lo, 0, v2
	v_cmp_eq_f32_e64 s0, 0, v3
	v_lshlrev_b64 v[0:1], 3, v[0:1]
	v_fmac_f32_e32 v6, v4, v9
	v_fmac_f32_e32 v7, v5, v9
	s_mul_hi_u32 s1, s6, 40
	s_and_b32 s5, vcc_lo, s0
	s_mul_i32 s0, s7, 40
	s_mul_i32 s4, s6, 40
	s_and_saveexec_b32 s6, s5
	s_xor_b32 s5, exec_lo, s6
	s_cbranch_execz .LBB16_36
; %bb.35:
	s_add_i32 s6, s1, s0
	s_add_u32 s7, s2, s4
	s_addc_u32 s6, s3, s6
	v_add_co_u32 v0, vcc_lo, s7, v0
	v_add_co_ci_u32_e64 v1, null, s6, v1, vcc_lo
                                        ; implicit-def: $vgpr2_vgpr3
	global_store_dwordx2 v[0:1], v[6:7], off
                                        ; implicit-def: $vgpr0_vgpr1
                                        ; implicit-def: $vgpr6
.LBB16_36:
	s_andn2_saveexec_b32 s5, s5
	s_cbranch_execz .LBB16_38
; %bb.37:
	s_add_i32 s1, s1, s0
	s_add_u32 s0, s2, s4
	s_addc_u32 s1, s3, s1
	v_add_co_u32 v0, vcc_lo, s0, v0
	v_add_co_ci_u32_e64 v1, null, s1, v1, vcc_lo
	global_load_dwordx2 v[4:5], v[0:1], off
	s_waitcnt vmcnt(0)
	v_fmac_f32_e32 v6, v2, v4
	v_fmac_f32_e32 v7, v3, v4
	v_fma_f32 v6, -v3, v5, v6
	v_fmac_f32_e32 v7, v2, v5
	global_store_dwordx2 v[0:1], v[6:7], off
.LBB16_38:
	s_endpgm
	.section	.rodata,"a",@progbits
	.p2align	6, 0x0
	.amdhsa_kernel _ZN9rocsparseL18bsrxmvn_5x5_kernelILj50E21rocsparse_complex_numIfEllS2_S2_S2_EEvT2_20rocsparse_direction_NS_24const_host_device_scalarIT0_EES3_PKS3_PKT1_SC_S9_PKT3_PKT4_S7_PT5_21rocsparse_index_base_b
		.amdhsa_group_segment_fixed_size 400
		.amdhsa_private_segment_fixed_size 0
		.amdhsa_kernarg_size 104
		.amdhsa_user_sgpr_count 6
		.amdhsa_user_sgpr_private_segment_buffer 1
		.amdhsa_user_sgpr_dispatch_ptr 0
		.amdhsa_user_sgpr_queue_ptr 0
		.amdhsa_user_sgpr_kernarg_segment_ptr 1
		.amdhsa_user_sgpr_dispatch_id 0
		.amdhsa_user_sgpr_flat_scratch_init 0
		.amdhsa_user_sgpr_private_segment_size 0
		.amdhsa_wavefront_size32 1
		.amdhsa_uses_dynamic_stack 0
		.amdhsa_system_sgpr_private_segment_wavefront_offset 0
		.amdhsa_system_sgpr_workgroup_id_x 1
		.amdhsa_system_sgpr_workgroup_id_y 0
		.amdhsa_system_sgpr_workgroup_id_z 0
		.amdhsa_system_sgpr_workgroup_info 0
		.amdhsa_system_vgpr_workitem_id 0
		.amdhsa_next_free_vgpr 21
		.amdhsa_next_free_sgpr 20
		.amdhsa_reserve_vcc 1
		.amdhsa_reserve_flat_scratch 0
		.amdhsa_float_round_mode_32 0
		.amdhsa_float_round_mode_16_64 0
		.amdhsa_float_denorm_mode_32 3
		.amdhsa_float_denorm_mode_16_64 3
		.amdhsa_dx10_clamp 1
		.amdhsa_ieee_mode 1
		.amdhsa_fp16_overflow 0
		.amdhsa_workgroup_processor_mode 1
		.amdhsa_memory_ordered 1
		.amdhsa_forward_progress 1
		.amdhsa_shared_vgpr_count 0
		.amdhsa_exception_fp_ieee_invalid_op 0
		.amdhsa_exception_fp_denorm_src 0
		.amdhsa_exception_fp_ieee_div_zero 0
		.amdhsa_exception_fp_ieee_overflow 0
		.amdhsa_exception_fp_ieee_underflow 0
		.amdhsa_exception_fp_ieee_inexact 0
		.amdhsa_exception_int_div_zero 0
	.end_amdhsa_kernel
	.section	.text._ZN9rocsparseL18bsrxmvn_5x5_kernelILj50E21rocsparse_complex_numIfEllS2_S2_S2_EEvT2_20rocsparse_direction_NS_24const_host_device_scalarIT0_EES3_PKS3_PKT1_SC_S9_PKT3_PKT4_S7_PT5_21rocsparse_index_base_b,"axG",@progbits,_ZN9rocsparseL18bsrxmvn_5x5_kernelILj50E21rocsparse_complex_numIfEllS2_S2_S2_EEvT2_20rocsparse_direction_NS_24const_host_device_scalarIT0_EES3_PKS3_PKT1_SC_S9_PKT3_PKT4_S7_PT5_21rocsparse_index_base_b,comdat
.Lfunc_end16:
	.size	_ZN9rocsparseL18bsrxmvn_5x5_kernelILj50E21rocsparse_complex_numIfEllS2_S2_S2_EEvT2_20rocsparse_direction_NS_24const_host_device_scalarIT0_EES3_PKS3_PKT1_SC_S9_PKT3_PKT4_S7_PT5_21rocsparse_index_base_b, .Lfunc_end16-_ZN9rocsparseL18bsrxmvn_5x5_kernelILj50E21rocsparse_complex_numIfEllS2_S2_S2_EEvT2_20rocsparse_direction_NS_24const_host_device_scalarIT0_EES3_PKS3_PKT1_SC_S9_PKT3_PKT4_S7_PT5_21rocsparse_index_base_b
                                        ; -- End function
	.set _ZN9rocsparseL18bsrxmvn_5x5_kernelILj50E21rocsparse_complex_numIfEllS2_S2_S2_EEvT2_20rocsparse_direction_NS_24const_host_device_scalarIT0_EES3_PKS3_PKT1_SC_S9_PKT3_PKT4_S7_PT5_21rocsparse_index_base_b.num_vgpr, 21
	.set _ZN9rocsparseL18bsrxmvn_5x5_kernelILj50E21rocsparse_complex_numIfEllS2_S2_S2_EEvT2_20rocsparse_direction_NS_24const_host_device_scalarIT0_EES3_PKS3_PKT1_SC_S9_PKT3_PKT4_S7_PT5_21rocsparse_index_base_b.num_agpr, 0
	.set _ZN9rocsparseL18bsrxmvn_5x5_kernelILj50E21rocsparse_complex_numIfEllS2_S2_S2_EEvT2_20rocsparse_direction_NS_24const_host_device_scalarIT0_EES3_PKS3_PKT1_SC_S9_PKT3_PKT4_S7_PT5_21rocsparse_index_base_b.numbered_sgpr, 20
	.set _ZN9rocsparseL18bsrxmvn_5x5_kernelILj50E21rocsparse_complex_numIfEllS2_S2_S2_EEvT2_20rocsparse_direction_NS_24const_host_device_scalarIT0_EES3_PKS3_PKT1_SC_S9_PKT3_PKT4_S7_PT5_21rocsparse_index_base_b.num_named_barrier, 0
	.set _ZN9rocsparseL18bsrxmvn_5x5_kernelILj50E21rocsparse_complex_numIfEllS2_S2_S2_EEvT2_20rocsparse_direction_NS_24const_host_device_scalarIT0_EES3_PKS3_PKT1_SC_S9_PKT3_PKT4_S7_PT5_21rocsparse_index_base_b.private_seg_size, 0
	.set _ZN9rocsparseL18bsrxmvn_5x5_kernelILj50E21rocsparse_complex_numIfEllS2_S2_S2_EEvT2_20rocsparse_direction_NS_24const_host_device_scalarIT0_EES3_PKS3_PKT1_SC_S9_PKT3_PKT4_S7_PT5_21rocsparse_index_base_b.uses_vcc, 1
	.set _ZN9rocsparseL18bsrxmvn_5x5_kernelILj50E21rocsparse_complex_numIfEllS2_S2_S2_EEvT2_20rocsparse_direction_NS_24const_host_device_scalarIT0_EES3_PKS3_PKT1_SC_S9_PKT3_PKT4_S7_PT5_21rocsparse_index_base_b.uses_flat_scratch, 0
	.set _ZN9rocsparseL18bsrxmvn_5x5_kernelILj50E21rocsparse_complex_numIfEllS2_S2_S2_EEvT2_20rocsparse_direction_NS_24const_host_device_scalarIT0_EES3_PKS3_PKT1_SC_S9_PKT3_PKT4_S7_PT5_21rocsparse_index_base_b.has_dyn_sized_stack, 0
	.set _ZN9rocsparseL18bsrxmvn_5x5_kernelILj50E21rocsparse_complex_numIfEllS2_S2_S2_EEvT2_20rocsparse_direction_NS_24const_host_device_scalarIT0_EES3_PKS3_PKT1_SC_S9_PKT3_PKT4_S7_PT5_21rocsparse_index_base_b.has_recursion, 0
	.set _ZN9rocsparseL18bsrxmvn_5x5_kernelILj50E21rocsparse_complex_numIfEllS2_S2_S2_EEvT2_20rocsparse_direction_NS_24const_host_device_scalarIT0_EES3_PKS3_PKT1_SC_S9_PKT3_PKT4_S7_PT5_21rocsparse_index_base_b.has_indirect_call, 0
	.section	.AMDGPU.csdata,"",@progbits
; Kernel info:
; codeLenInByte = 1616
; TotalNumSgprs: 22
; NumVgprs: 21
; ScratchSize: 0
; MemoryBound: 0
; FloatMode: 240
; IeeeMode: 1
; LDSByteSize: 400 bytes/workgroup (compile time only)
; SGPRBlocks: 0
; VGPRBlocks: 2
; NumSGPRsForWavesPerEU: 22
; NumVGPRsForWavesPerEU: 21
; Occupancy: 16
; WaveLimiterHint : 1
; COMPUTE_PGM_RSRC2:SCRATCH_EN: 0
; COMPUTE_PGM_RSRC2:USER_SGPR: 6
; COMPUTE_PGM_RSRC2:TRAP_HANDLER: 0
; COMPUTE_PGM_RSRC2:TGID_X_EN: 1
; COMPUTE_PGM_RSRC2:TGID_Y_EN: 0
; COMPUTE_PGM_RSRC2:TGID_Z_EN: 0
; COMPUTE_PGM_RSRC2:TIDIG_COMP_CNT: 0
	.section	.text._ZN9rocsparseL18bsrxmvn_5x5_kernelILj50E21rocsparse_complex_numIdEllS2_S2_S2_EEvT2_20rocsparse_direction_NS_24const_host_device_scalarIT0_EES3_PKS3_PKT1_SC_S9_PKT3_PKT4_S7_PT5_21rocsparse_index_base_b,"axG",@progbits,_ZN9rocsparseL18bsrxmvn_5x5_kernelILj50E21rocsparse_complex_numIdEllS2_S2_S2_EEvT2_20rocsparse_direction_NS_24const_host_device_scalarIT0_EES3_PKS3_PKT1_SC_S9_PKT3_PKT4_S7_PT5_21rocsparse_index_base_b,comdat
	.globl	_ZN9rocsparseL18bsrxmvn_5x5_kernelILj50E21rocsparse_complex_numIdEllS2_S2_S2_EEvT2_20rocsparse_direction_NS_24const_host_device_scalarIT0_EES3_PKS3_PKT1_SC_S9_PKT3_PKT4_S7_PT5_21rocsparse_index_base_b ; -- Begin function _ZN9rocsparseL18bsrxmvn_5x5_kernelILj50E21rocsparse_complex_numIdEllS2_S2_S2_EEvT2_20rocsparse_direction_NS_24const_host_device_scalarIT0_EES3_PKS3_PKT1_SC_S9_PKT3_PKT4_S7_PT5_21rocsparse_index_base_b
	.p2align	8
	.type	_ZN9rocsparseL18bsrxmvn_5x5_kernelILj50E21rocsparse_complex_numIdEllS2_S2_S2_EEvT2_20rocsparse_direction_NS_24const_host_device_scalarIT0_EES3_PKS3_PKT1_SC_S9_PKT3_PKT4_S7_PT5_21rocsparse_index_base_b,@function
_ZN9rocsparseL18bsrxmvn_5x5_kernelILj50E21rocsparse_complex_numIdEllS2_S2_S2_EEvT2_20rocsparse_direction_NS_24const_host_device_scalarIT0_EES3_PKS3_PKT1_SC_S9_PKT3_PKT4_S7_PT5_21rocsparse_index_base_b: ; @_ZN9rocsparseL18bsrxmvn_5x5_kernelILj50E21rocsparse_complex_numIdEllS2_S2_S2_EEvT2_20rocsparse_direction_NS_24const_host_device_scalarIT0_EES3_PKS3_PKT1_SC_S9_PKT3_PKT4_S7_PT5_21rocsparse_index_base_b
; %bb.0:
	s_clause 0x1
	s_load_dwordx2 s[8:9], s[4:5], 0x70
	s_load_dwordx2 s[0:1], s[4:5], 0x10
	s_add_u32 s7, s4, 16
	s_addc_u32 s10, s5, 0
	s_add_u32 s11, s4, 0x58
	s_addc_u32 s12, s5, 0
	s_load_dwordx2 s[2:3], s[4:5], 0x58
	s_waitcnt lgkmcnt(0)
	s_bitcmp1_b32 s9, 0
	s_cselect_b32 s0, s7, s0
	s_cselect_b32 s1, s10, s1
	v_mov_b32_e32 v1, s0
	v_mov_b32_e32 v2, s1
	s_cselect_b32 s0, s11, s2
	s_cselect_b32 s1, s12, s3
	flat_load_dwordx4 v[6:9], v[1:2]
	v_mov_b32_e32 v1, s0
	v_mov_b32_e32 v2, s1
	flat_load_dwordx4 v[2:5], v[1:2]
	s_waitcnt vmcnt(1) lgkmcnt(1)
	v_cmp_eq_f64_e32 vcc_lo, 0, v[6:7]
	v_cmp_eq_f64_e64 s0, 0, v[8:9]
	s_and_b32 s2, vcc_lo, s0
	s_mov_b32 s0, -1
	s_and_saveexec_b32 s1, s2
	s_cbranch_execz .LBB17_2
; %bb.1:
	s_waitcnt vmcnt(0) lgkmcnt(0)
	v_cmp_neq_f64_e32 vcc_lo, 1.0, v[2:3]
	v_cmp_neq_f64_e64 s0, 0, v[4:5]
	s_or_b32 s0, vcc_lo, s0
	s_orn2_b32 s0, s0, exec_lo
.LBB17_2:
	s_or_b32 exec_lo, exec_lo, s1
	s_and_saveexec_b32 s1, s0
	s_cbranch_execz .LBB17_38
; %bb.3:
	s_clause 0x1
	s_load_dwordx4 s[0:3], s[4:5], 0x28
	s_load_dwordx2 s[10:11], s[4:5], 0x38
	s_mov_b32 s7, 0
	s_waitcnt lgkmcnt(0)
	s_cmp_eq_u64 s[0:1], 0
	s_cbranch_scc1 .LBB17_5
; %bb.4:
	s_lshl_b64 s[6:7], s[6:7], 3
	s_add_u32 s0, s0, s6
	s_addc_u32 s1, s1, s7
	s_load_dwordx2 s[0:1], s[0:1], 0x0
	s_waitcnt lgkmcnt(0)
	s_sub_u32 s6, s0, s8
	s_subb_u32 s7, s1, 0
.LBB17_5:
	s_load_dword s1, s[4:5], 0x8
	v_mul_u32_u24_e32 v1, 0x3334, v0
	v_lshrrev_b32_e32 v16, 16, v1
	v_mul_lo_u16 v10, v16, 5
	s_waitcnt lgkmcnt(0)
	s_cmp_eq_u32 s1, 1
	s_cselect_b32 s0, -1, 0
	s_cmp_lg_u32 s1, 1
	s_cselect_b32 s9, -1, 0
	s_lshl_b64 s[12:13], s[6:7], 3
	s_add_u32 s2, s2, s12
	s_addc_u32 s3, s3, s13
	s_add_u32 s1, s2, 8
	s_addc_u32 s14, s3, 0
	;; [unrolled: 2-line block ×3, first 2 shown]
	s_cmp_eq_u64 s[10:11], 0
	s_cselect_b32 s13, s14, s13
	s_cselect_b32 s12, s1, s12
	s_load_dwordx2 s[10:11], s[2:3], 0x0
	s_load_dwordx2 s[12:13], s[12:13], 0x0
	s_waitcnt lgkmcnt(0)
	v_cmp_lt_i64_e64 s1, s[10:11], s[12:13]
	s_and_b32 vcc_lo, exec_lo, s1
	s_cbranch_vccnz .LBB17_7
; %bb.6:
	v_mov_b32_e32 v1, 0
	s_mov_b32 s1, 0
	s_branch .LBB17_8
.LBB17_7:
	s_mov_b32 s1, -1
.LBB17_8:
	s_load_dwordx2 s[2:3], s[4:5], 0x68
	v_sub_nc_u16 v21, v0, v10
	v_mov_b32_e32 v12, 0
	v_mov_b32_e32 v10, 0
	;; [unrolled: 1-line block ×4, first 2 shown]
	v_lshlrev_b32_e32 v14, 4, v0
	s_andn2_b32 vcc_lo, exec_lo, s1
	s_cbranch_vccnz .LBB17_13
; %bb.9:
	v_mul_lo_u16 v10, v16, 52
	v_mov_b32_e32 v1, 0
	v_mov_b32_e32 v12, 0xa3e
	s_clause 0x1
	s_load_dwordx2 s[14:15], s[4:5], 0x50
	s_load_dwordx4 s[16:19], s[4:5], 0x40
	s_mul_i32 s5, s8, 0x190
	v_lshrrev_b16 v10, 8, v10
	v_mov_b32_e32 v15, v1
	v_mul_u32_u24_sdwa v12, v0, v12 dst_sel:DWORD dst_unused:UNUSED_PAD src0_sel:WORD_0 src1_sel:DWORD
	s_mul_hi_u32 s1, s8, 0x190
	s_sub_u32 s4, s12, s8
	v_mul_lo_u16 v13, v10, 5
	v_mad_u64_u32 v[10:11], null, 0x190, s10, v[14:15]
	v_and_b32_e32 v15, 0xffff, v21
	v_lshrrev_b32_e32 v22, 16, v12
	v_sub_nc_u16 v13, v16, v13
	v_mad_u64_u32 v[11:12], null, 0x190, s11, v[11:12]
	v_and_b32_e32 v13, 0xff, v13
	v_sub_co_u32 v10, vcc_lo, v10, s5
	s_subb_u32 s5, s13, 0
	v_cndmask_b32_e64 v12, v15, v13, s0
	v_add_co_u32 v13, s0, s10, v22
	v_add_co_ci_u32_e64 v15, null, s11, 0, s0
	v_subrev_co_ci_u32_e64 v18, null, s1, v11, vcc_lo
	v_or_b32_e32 v17, 8, v10
	v_sub_co_u32 v10, vcc_lo, v13, s8
	v_subrev_co_ci_u32_e64 v11, null, 0, v15, vcc_lo
	v_lshlrev_b32_e32 v12, 4, v12
	s_waitcnt lgkmcnt(0)
	v_add_co_u32 v17, vcc_lo, s18, v17
	v_lshlrev_b64 v[10:11], 3, v[10:11]
	v_add_co_ci_u32_e64 v18, null, s19, v18, vcc_lo
	v_add_co_u32 v15, s0, s14, v12
	v_mov_b32_e32 v12, 0
	v_mov_b32_e32 v13, 0
	v_add_co_u32 v19, vcc_lo, s16, v10
	v_add_co_ci_u32_e64 v20, null, s17, v11, vcc_lo
	v_mov_b32_e32 v10, v12
	v_add_co_ci_u32_e64 v16, null, s15, 0, s0
	v_mov_b32_e32 v11, v13
	s_sub_u32 s0, s10, s8
	s_subb_u32 s1, s11, 0
	s_branch .LBB17_11
.LBB17_10:                              ;   in Loop: Header=BB17_11 Depth=1
	s_or_b32 exec_lo, exec_lo, s10
	s_add_u32 s0, s0, 2
	s_addc_u32 s1, s1, 0
	v_add_co_u32 v17, vcc_lo, 0x320, v17
	v_cmp_ge_i64_e64 s10, s[0:1], s[4:5]
	v_add_co_ci_u32_e64 v18, null, 0, v18, vcc_lo
	v_add_co_u32 v19, vcc_lo, v19, 16
	v_add_co_ci_u32_e64 v20, null, 0, v20, vcc_lo
	s_and_b32 vcc_lo, exec_lo, s10
	s_cbranch_vccnz .LBB17_13
.LBB17_11:                              ; =>This Inner Loop Header: Depth=1
	v_add_co_u32 v23, s10, v22, s0
	v_add_co_ci_u32_e64 v24, null, 0, s1, s10
	s_mov_b32 s10, exec_lo
	v_cmpx_gt_i64_e64 s[4:5], v[23:24]
	s_cbranch_execz .LBB17_10
; %bb.12:                               ;   in Loop: Header=BB17_11 Depth=1
	global_load_dwordx2 v[23:24], v[19:20], off
	s_waitcnt vmcnt(0)
	v_sub_co_u32 v23, vcc_lo, v23, s8
	v_subrev_co_ci_u32_e64 v24, null, 0, v24, vcc_lo
	v_mad_u64_u32 v[27:28], null, 0x50, v23, v[15:16]
	v_mov_b32_e32 v23, v28
	v_mad_u64_u32 v[23:24], null, 0x50, v24, v[23:24]
	v_mov_b32_e32 v28, v23
	global_load_dwordx4 v[23:26], v[17:18], off offset:-8
	global_load_dwordx4 v[27:30], v[27:28], off
	s_waitcnt vmcnt(0)
	v_fma_f64 v[10:11], v[23:24], v[27:28], v[10:11]
	v_fma_f64 v[12:13], v[25:26], v[27:28], v[12:13]
	v_fma_f64 v[10:11], -v[25:26], v[29:30], v[10:11]
	v_fma_f64 v[12:13], v[23:24], v[29:30], v[12:13]
	s_branch .LBB17_10
.LBB17_13:
	s_and_b32 vcc_lo, exec_lo, s9
	ds_write_b128 v14, v[10:13]
	s_waitcnt vmcnt(0) lgkmcnt(0)
	buffer_gl0_inv
	s_cbranch_vccz .LBB17_23
; %bb.14:
	s_mov_b32 s0, exec_lo
	v_cmpx_gt_u32_e32 25, v0
	s_cbranch_execz .LBB17_16
; %bb.15:
	ds_read_b128 v[15:18], v14 offset:400
	ds_read_b128 v[22:25], v14
	s_waitcnt lgkmcnt(0)
	v_add_f64 v[15:16], v[15:16], v[22:23]
	v_add_f64 v[17:18], v[17:18], v[24:25]
	ds_write_b128 v14, v[15:18]
.LBB17_16:
	s_or_b32 exec_lo, exec_lo, s0
	s_mov_b32 s0, exec_lo
	s_waitcnt lgkmcnt(0)
	buffer_gl0_inv
	v_cmpx_eq_u16_e32 0, v21
	s_cbranch_execz .LBB17_18
; %bb.17:
	ds_read_b128 v[15:18], v14 offset:64
	ds_read_b128 v[22:25], v14
	s_waitcnt lgkmcnt(0)
	v_add_f64 v[15:16], v[15:16], v[22:23]
	v_add_f64 v[17:18], v[17:18], v[24:25]
	ds_write_b128 v14, v[15:18]
.LBB17_18:
	s_or_b32 exec_lo, exec_lo, s0
	s_mov_b32 s0, exec_lo
	s_waitcnt lgkmcnt(0)
	buffer_gl0_inv
	v_cmpx_gt_u16_e32 2, v21
	s_cbranch_execz .LBB17_20
; %bb.19:
	ds_read_b128 v[15:18], v14
	ds_read_b128 v[19:22], v14 offset:32
	s_waitcnt lgkmcnt(0)
	v_add_f64 v[15:16], v[19:20], v[15:16]
	v_add_f64 v[17:18], v[21:22], v[17:18]
	ds_write_b128 v14, v[15:18]
.LBB17_20:
	s_or_b32 exec_lo, exec_lo, s0
	v_mov_b32_e32 v18, v13
	v_mov_b32_e32 v16, v11
	;; [unrolled: 1-line block ×4, first 2 shown]
	s_mov_b32 s0, exec_lo
	s_waitcnt lgkmcnt(0)
	buffer_gl0_inv
	v_cmpx_gt_u32_e32 5, v0
	s_cbranch_execz .LBB17_22
; %bb.21:
	v_lshl_add_u32 v19, v0, 6, v14
	ds_read_b128 v[15:18], v19
	ds_read_b128 v[19:22], v19 offset:16
	s_waitcnt lgkmcnt(0)
	v_add_f64 v[15:16], v[19:20], v[15:16]
	v_add_f64 v[17:18], v[21:22], v[17:18]
.LBB17_22:
	s_or_b32 exec_lo, exec_lo, s0
	s_branch .LBB17_33
.LBB17_23:
                                        ; implicit-def: $vgpr17_vgpr18
                                        ; implicit-def: $vgpr15_vgpr16
	s_cbranch_execz .LBB17_33
; %bb.24:
	v_cmp_gt_u32_e32 vcc_lo, 10, v0
	s_and_saveexec_b32 s0, vcc_lo
	s_cbranch_execz .LBB17_26
; %bb.25:
	ds_read_b128 v[15:18], v14 offset:640
	ds_read_b128 v[19:22], v14
	s_waitcnt lgkmcnt(0)
	v_add_f64 v[15:16], v[15:16], v[19:20]
	v_add_f64 v[17:18], v[17:18], v[21:22]
	ds_write_b128 v14, v[15:18]
.LBB17_26:
	s_or_b32 exec_lo, exec_lo, s0
	s_mov_b32 s1, exec_lo
	s_waitcnt lgkmcnt(0)
	buffer_gl0_inv
	v_cmpx_gt_u32_e32 20, v0
	s_cbranch_execz .LBB17_28
; %bb.27:
	ds_read_b128 v[15:18], v14 offset:320
	ds_read_b128 v[19:22], v14
	s_waitcnt lgkmcnt(0)
	v_add_f64 v[15:16], v[15:16], v[19:20]
	v_add_f64 v[17:18], v[17:18], v[21:22]
	ds_write_b128 v14, v[15:18]
.LBB17_28:
	s_or_b32 exec_lo, exec_lo, s1
	s_waitcnt lgkmcnt(0)
	buffer_gl0_inv
	s_and_saveexec_b32 s0, vcc_lo
	s_cbranch_execz .LBB17_30
; %bb.29:
	ds_read_b128 v[15:18], v14 offset:160
	ds_read_b128 v[19:22], v14
	s_waitcnt lgkmcnt(0)
	v_add_f64 v[15:16], v[15:16], v[19:20]
	v_add_f64 v[17:18], v[17:18], v[21:22]
	ds_write_b128 v14, v[15:18]
.LBB17_30:
	s_or_b32 exec_lo, exec_lo, s0
	s_mov_b32 s0, exec_lo
	s_waitcnt lgkmcnt(0)
	buffer_gl0_inv
	v_cmpx_gt_u32_e32 5, v0
	s_cbranch_execz .LBB17_32
; %bb.31:
	ds_read_b128 v[10:13], v14 offset:80
	ds_read_b128 v[14:17], v14
	s_waitcnt lgkmcnt(0)
	v_add_f64 v[10:11], v[10:11], v[14:15]
	v_add_f64 v[12:13], v[12:13], v[16:17]
.LBB17_32:
	s_or_b32 exec_lo, exec_lo, s0
	v_mov_b32_e32 v18, v13
	v_mov_b32_e32 v16, v11
	;; [unrolled: 1-line block ×4, first 2 shown]
.LBB17_33:
	v_cmp_gt_u32_e32 vcc_lo, 5, v0
	s_and_b32 exec_lo, exec_lo, vcc_lo
	s_cbranch_execz .LBB17_38
; %bb.34:
	v_mul_f64 v[10:11], v[17:18], -v[8:9]
	v_mul_f64 v[12:13], v[6:7], v[17:18]
	v_cmp_eq_f64_e32 vcc_lo, 0, v[2:3]
	v_cmp_eq_f64_e64 s0, 0, v[4:5]
	v_lshlrev_b64 v[0:1], 4, v[0:1]
	s_mul_hi_u32 s1, s6, 0x50
	s_mul_i32 s4, s6, 0x50
	v_fma_f64 v[6:7], v[6:7], v[15:16], v[10:11]
	v_fma_f64 v[8:9], v[8:9], v[15:16], v[12:13]
	s_and_b32 s5, vcc_lo, s0
	s_mul_i32 s0, s7, 0x50
	s_and_saveexec_b32 s6, s5
	s_xor_b32 s5, exec_lo, s6
	s_cbranch_execz .LBB17_36
; %bb.35:
	s_add_i32 s6, s1, s0
	s_add_u32 s7, s2, s4
	s_addc_u32 s6, s3, s6
	v_add_co_u32 v0, vcc_lo, s7, v0
	v_add_co_ci_u32_e64 v1, null, s6, v1, vcc_lo
                                        ; implicit-def: $vgpr2_vgpr3
	global_store_dwordx4 v[0:1], v[6:9], off
                                        ; implicit-def: $vgpr0_vgpr1
                                        ; implicit-def: $vgpr6_vgpr7
.LBB17_36:
	s_andn2_saveexec_b32 s5, s5
	s_cbranch_execz .LBB17_38
; %bb.37:
	s_add_i32 s1, s1, s0
	s_add_u32 s0, s2, s4
	s_addc_u32 s1, s3, s1
	v_add_co_u32 v14, vcc_lo, s0, v0
	v_add_co_ci_u32_e64 v15, null, s1, v1, vcc_lo
	global_load_dwordx4 v[10:13], v[14:15], off
	s_waitcnt vmcnt(0)
	v_fma_f64 v[0:1], v[2:3], v[10:11], v[6:7]
	v_fma_f64 v[6:7], v[4:5], v[10:11], v[8:9]
	v_fma_f64 v[0:1], -v[4:5], v[12:13], v[0:1]
	v_fma_f64 v[2:3], v[2:3], v[12:13], v[6:7]
	global_store_dwordx4 v[14:15], v[0:3], off
.LBB17_38:
	s_endpgm
	.section	.rodata,"a",@progbits
	.p2align	6, 0x0
	.amdhsa_kernel _ZN9rocsparseL18bsrxmvn_5x5_kernelILj50E21rocsparse_complex_numIdEllS2_S2_S2_EEvT2_20rocsparse_direction_NS_24const_host_device_scalarIT0_EES3_PKS3_PKT1_SC_S9_PKT3_PKT4_S7_PT5_21rocsparse_index_base_b
		.amdhsa_group_segment_fixed_size 800
		.amdhsa_private_segment_fixed_size 0
		.amdhsa_kernarg_size 120
		.amdhsa_user_sgpr_count 6
		.amdhsa_user_sgpr_private_segment_buffer 1
		.amdhsa_user_sgpr_dispatch_ptr 0
		.amdhsa_user_sgpr_queue_ptr 0
		.amdhsa_user_sgpr_kernarg_segment_ptr 1
		.amdhsa_user_sgpr_dispatch_id 0
		.amdhsa_user_sgpr_flat_scratch_init 0
		.amdhsa_user_sgpr_private_segment_size 0
		.amdhsa_wavefront_size32 1
		.amdhsa_uses_dynamic_stack 0
		.amdhsa_system_sgpr_private_segment_wavefront_offset 0
		.amdhsa_system_sgpr_workgroup_id_x 1
		.amdhsa_system_sgpr_workgroup_id_y 0
		.amdhsa_system_sgpr_workgroup_id_z 0
		.amdhsa_system_sgpr_workgroup_info 0
		.amdhsa_system_vgpr_workitem_id 0
		.amdhsa_next_free_vgpr 31
		.amdhsa_next_free_sgpr 20
		.amdhsa_reserve_vcc 1
		.amdhsa_reserve_flat_scratch 0
		.amdhsa_float_round_mode_32 0
		.amdhsa_float_round_mode_16_64 0
		.amdhsa_float_denorm_mode_32 3
		.amdhsa_float_denorm_mode_16_64 3
		.amdhsa_dx10_clamp 1
		.amdhsa_ieee_mode 1
		.amdhsa_fp16_overflow 0
		.amdhsa_workgroup_processor_mode 1
		.amdhsa_memory_ordered 1
		.amdhsa_forward_progress 1
		.amdhsa_shared_vgpr_count 0
		.amdhsa_exception_fp_ieee_invalid_op 0
		.amdhsa_exception_fp_denorm_src 0
		.amdhsa_exception_fp_ieee_div_zero 0
		.amdhsa_exception_fp_ieee_overflow 0
		.amdhsa_exception_fp_ieee_underflow 0
		.amdhsa_exception_fp_ieee_inexact 0
		.amdhsa_exception_int_div_zero 0
	.end_amdhsa_kernel
	.section	.text._ZN9rocsparseL18bsrxmvn_5x5_kernelILj50E21rocsparse_complex_numIdEllS2_S2_S2_EEvT2_20rocsparse_direction_NS_24const_host_device_scalarIT0_EES3_PKS3_PKT1_SC_S9_PKT3_PKT4_S7_PT5_21rocsparse_index_base_b,"axG",@progbits,_ZN9rocsparseL18bsrxmvn_5x5_kernelILj50E21rocsparse_complex_numIdEllS2_S2_S2_EEvT2_20rocsparse_direction_NS_24const_host_device_scalarIT0_EES3_PKS3_PKT1_SC_S9_PKT3_PKT4_S7_PT5_21rocsparse_index_base_b,comdat
.Lfunc_end17:
	.size	_ZN9rocsparseL18bsrxmvn_5x5_kernelILj50E21rocsparse_complex_numIdEllS2_S2_S2_EEvT2_20rocsparse_direction_NS_24const_host_device_scalarIT0_EES3_PKS3_PKT1_SC_S9_PKT3_PKT4_S7_PT5_21rocsparse_index_base_b, .Lfunc_end17-_ZN9rocsparseL18bsrxmvn_5x5_kernelILj50E21rocsparse_complex_numIdEllS2_S2_S2_EEvT2_20rocsparse_direction_NS_24const_host_device_scalarIT0_EES3_PKS3_PKT1_SC_S9_PKT3_PKT4_S7_PT5_21rocsparse_index_base_b
                                        ; -- End function
	.set _ZN9rocsparseL18bsrxmvn_5x5_kernelILj50E21rocsparse_complex_numIdEllS2_S2_S2_EEvT2_20rocsparse_direction_NS_24const_host_device_scalarIT0_EES3_PKS3_PKT1_SC_S9_PKT3_PKT4_S7_PT5_21rocsparse_index_base_b.num_vgpr, 31
	.set _ZN9rocsparseL18bsrxmvn_5x5_kernelILj50E21rocsparse_complex_numIdEllS2_S2_S2_EEvT2_20rocsparse_direction_NS_24const_host_device_scalarIT0_EES3_PKS3_PKT1_SC_S9_PKT3_PKT4_S7_PT5_21rocsparse_index_base_b.num_agpr, 0
	.set _ZN9rocsparseL18bsrxmvn_5x5_kernelILj50E21rocsparse_complex_numIdEllS2_S2_S2_EEvT2_20rocsparse_direction_NS_24const_host_device_scalarIT0_EES3_PKS3_PKT1_SC_S9_PKT3_PKT4_S7_PT5_21rocsparse_index_base_b.numbered_sgpr, 20
	.set _ZN9rocsparseL18bsrxmvn_5x5_kernelILj50E21rocsparse_complex_numIdEllS2_S2_S2_EEvT2_20rocsparse_direction_NS_24const_host_device_scalarIT0_EES3_PKS3_PKT1_SC_S9_PKT3_PKT4_S7_PT5_21rocsparse_index_base_b.num_named_barrier, 0
	.set _ZN9rocsparseL18bsrxmvn_5x5_kernelILj50E21rocsparse_complex_numIdEllS2_S2_S2_EEvT2_20rocsparse_direction_NS_24const_host_device_scalarIT0_EES3_PKS3_PKT1_SC_S9_PKT3_PKT4_S7_PT5_21rocsparse_index_base_b.private_seg_size, 0
	.set _ZN9rocsparseL18bsrxmvn_5x5_kernelILj50E21rocsparse_complex_numIdEllS2_S2_S2_EEvT2_20rocsparse_direction_NS_24const_host_device_scalarIT0_EES3_PKS3_PKT1_SC_S9_PKT3_PKT4_S7_PT5_21rocsparse_index_base_b.uses_vcc, 1
	.set _ZN9rocsparseL18bsrxmvn_5x5_kernelILj50E21rocsparse_complex_numIdEllS2_S2_S2_EEvT2_20rocsparse_direction_NS_24const_host_device_scalarIT0_EES3_PKS3_PKT1_SC_S9_PKT3_PKT4_S7_PT5_21rocsparse_index_base_b.uses_flat_scratch, 0
	.set _ZN9rocsparseL18bsrxmvn_5x5_kernelILj50E21rocsparse_complex_numIdEllS2_S2_S2_EEvT2_20rocsparse_direction_NS_24const_host_device_scalarIT0_EES3_PKS3_PKT1_SC_S9_PKT3_PKT4_S7_PT5_21rocsparse_index_base_b.has_dyn_sized_stack, 0
	.set _ZN9rocsparseL18bsrxmvn_5x5_kernelILj50E21rocsparse_complex_numIdEllS2_S2_S2_EEvT2_20rocsparse_direction_NS_24const_host_device_scalarIT0_EES3_PKS3_PKT1_SC_S9_PKT3_PKT4_S7_PT5_21rocsparse_index_base_b.has_recursion, 0
	.set _ZN9rocsparseL18bsrxmvn_5x5_kernelILj50E21rocsparse_complex_numIdEllS2_S2_S2_EEvT2_20rocsparse_direction_NS_24const_host_device_scalarIT0_EES3_PKS3_PKT1_SC_S9_PKT3_PKT4_S7_PT5_21rocsparse_index_base_b.has_indirect_call, 0
	.section	.AMDGPU.csdata,"",@progbits
; Kernel info:
; codeLenInByte = 1772
; TotalNumSgprs: 22
; NumVgprs: 31
; ScratchSize: 0
; MemoryBound: 1
; FloatMode: 240
; IeeeMode: 1
; LDSByteSize: 800 bytes/workgroup (compile time only)
; SGPRBlocks: 0
; VGPRBlocks: 3
; NumSGPRsForWavesPerEU: 22
; NumVGPRsForWavesPerEU: 31
; Occupancy: 16
; WaveLimiterHint : 1
; COMPUTE_PGM_RSRC2:SCRATCH_EN: 0
; COMPUTE_PGM_RSRC2:USER_SGPR: 6
; COMPUTE_PGM_RSRC2:TRAP_HANDLER: 0
; COMPUTE_PGM_RSRC2:TGID_X_EN: 1
; COMPUTE_PGM_RSRC2:TGID_Y_EN: 0
; COMPUTE_PGM_RSRC2:TGID_Z_EN: 0
; COMPUTE_PGM_RSRC2:TIDIG_COMP_CNT: 0
	.section	.text._ZN9rocsparseL18bsrxmvn_5x5_kernelILj50EiiiaaiEEvT2_20rocsparse_direction_NS_24const_host_device_scalarIT0_EES1_PKS1_PKT1_SA_S7_PKT3_PKT4_S5_PT5_21rocsparse_index_base_b,"axG",@progbits,_ZN9rocsparseL18bsrxmvn_5x5_kernelILj50EiiiaaiEEvT2_20rocsparse_direction_NS_24const_host_device_scalarIT0_EES1_PKS1_PKT1_SA_S7_PKT3_PKT4_S5_PT5_21rocsparse_index_base_b,comdat
	.globl	_ZN9rocsparseL18bsrxmvn_5x5_kernelILj50EiiiaaiEEvT2_20rocsparse_direction_NS_24const_host_device_scalarIT0_EES1_PKS1_PKT1_SA_S7_PKT3_PKT4_S5_PT5_21rocsparse_index_base_b ; -- Begin function _ZN9rocsparseL18bsrxmvn_5x5_kernelILj50EiiiaaiEEvT2_20rocsparse_direction_NS_24const_host_device_scalarIT0_EES1_PKS1_PKT1_SA_S7_PKT3_PKT4_S5_PT5_21rocsparse_index_base_b
	.p2align	8
	.type	_ZN9rocsparseL18bsrxmvn_5x5_kernelILj50EiiiaaiEEvT2_20rocsparse_direction_NS_24const_host_device_scalarIT0_EES1_PKS1_PKT1_SA_S7_PKT3_PKT4_S5_PT5_21rocsparse_index_base_b,@function
_ZN9rocsparseL18bsrxmvn_5x5_kernelILj50EiiiaaiEEvT2_20rocsparse_direction_NS_24const_host_device_scalarIT0_EES1_PKS1_PKT1_SA_S7_PKT3_PKT4_S5_PT5_21rocsparse_index_base_b: ; @_ZN9rocsparseL18bsrxmvn_5x5_kernelILj50EiiiaaiEEvT2_20rocsparse_direction_NS_24const_host_device_scalarIT0_EES1_PKS1_PKT1_SA_S7_PKT3_PKT4_S5_PT5_21rocsparse_index_base_b
; %bb.0:
	s_clause 0x1
	s_load_dwordx2 s[10:11], s[4:5], 0x58
	s_load_dwordx2 s[2:3], s[4:5], 0x8
	s_mov_b32 s8, -1
	s_waitcnt lgkmcnt(0)
	s_bitcmp1_b32 s11, 0
                                        ; implicit-def: $sgpr11
	s_cselect_b32 s0, -1, 0
	s_xor_b32 s7, s0, -1
	s_and_b32 vcc_lo, exec_lo, s7
	s_cbranch_vccnz .LBB18_4
; %bb.1:
	s_load_dwordx2 s[0:1], s[4:5], 0x48
	s_andn2_b32 vcc_lo, exec_lo, s8
	s_cbranch_vccz .LBB18_5
.LBB18_2:
	s_and_b32 vcc_lo, exec_lo, s7
	s_cbranch_vccz .LBB18_6
.LBB18_3:
	s_waitcnt lgkmcnt(0)
	s_load_dword s12, s[0:1], 0x0
	s_cbranch_execz .LBB18_7
	s_branch .LBB18_8
.LBB18_4:
	s_load_dword s11, s[2:3], 0x0
	s_load_dwordx2 s[0:1], s[4:5], 0x48
	s_cbranch_execnz .LBB18_2
.LBB18_5:
	s_waitcnt lgkmcnt(0)
	s_mov_b32 s11, s2
	s_and_b32 vcc_lo, exec_lo, s7
	s_cbranch_vccnz .LBB18_3
.LBB18_6:
	s_waitcnt lgkmcnt(0)
                                        ; implicit-def: $sgpr12
.LBB18_7:
	s_waitcnt lgkmcnt(0)
	s_mov_b32 s12, s0
.LBB18_8:
	s_cmp_lg_u32 s11, 0
	s_cselect_b32 s0, -1, 0
	s_waitcnt lgkmcnt(0)
	s_cmp_lg_u32 s12, 1
	s_cselect_b32 s1, -1, 0
	s_or_b32 s0, s0, s1
	s_andn2_b32 vcc_lo, exec_lo, s0
	s_cbranch_vccnz .LBB18_40
; %bb.9:
	s_clause 0x1
	s_load_dwordx4 s[0:3], s[4:5], 0x18
	s_load_dwordx2 s[8:9], s[4:5], 0x28
	s_waitcnt lgkmcnt(0)
	s_cmp_eq_u64 s[0:1], 0
	s_cbranch_scc1 .LBB18_11
; %bb.10:
	s_ashr_i32 s7, s6, 31
	s_lshl_b64 s[6:7], s[6:7], 2
	s_add_u32 s0, s0, s6
	s_addc_u32 s1, s1, s7
	s_load_dword s0, s[0:1], 0x0
	s_waitcnt lgkmcnt(0)
	s_sub_i32 s6, s0, s10
.LBB18_11:
	s_load_dword s0, s[4:5], 0x4
	v_mul_u32_u24_e32 v1, 0x3334, v0
	v_mov_b32_e32 v4, 0
	v_lshrrev_b32_e32 v1, 16, v1
	v_mul_lo_u16 v2, v1, 5
	v_sub_nc_u16 v5, v0, v2
	s_waitcnt lgkmcnt(0)
	s_cmp_eq_u32 s0, 1
	s_cselect_b32 vcc_lo, -1, 0
	s_cmp_lg_u32 s0, 1
	s_cselect_b32 s13, -1, 0
	s_ashr_i32 s7, s6, 31
	s_lshl_b64 s[0:1], s[6:7], 2
	s_add_u32 s2, s2, s0
	s_addc_u32 s3, s3, s1
	s_add_u32 s7, s2, 4
	s_addc_u32 s14, s3, 0
	;; [unrolled: 2-line block ×3, first 2 shown]
	s_cmp_eq_u64 s[8:9], 0
	s_load_dwordx2 s[8:9], s[4:5], 0x50
	s_cselect_b32 s1, s14, s1
	s_cselect_b32 s0, s7, s0
	s_load_dword s14, s[2:3], 0x0
	s_load_dword s7, s[0:1], 0x0
	s_waitcnt lgkmcnt(0)
	s_cmp_ge_i32 s14, s7
	s_cbranch_scc1 .LBB18_16
; %bb.12:
	v_mul_lo_u16 v2, v1, 52
	s_clause 0x1
	s_load_dwordx4 s[0:3], s[4:5], 0x30
	s_load_dwordx2 s[4:5], s[4:5], 0x40
	v_and_b32_e32 v4, 0xffff, v5
	s_mul_i32 s15, s10, 25
	s_sub_i32 s7, s7, s10
	v_lshrrev_b16 v2, 8, v2
	v_mul_lo_u16 v2, v2, 5
	v_sub_nc_u16 v3, v1, v2
	v_mad_u64_u32 v[1:2], null, s14, 25, v[0:1]
	v_mov_b32_e32 v2, 0xa3e
	s_sub_i32 s14, s14, s10
	v_and_b32_e32 v3, 0xff, v3
	v_mul_u32_u24_sdwa v6, v0, v2 dst_sel:DWORD dst_unused:UNUSED_PAD src0_sel:WORD_0 src1_sel:DWORD
	v_subrev_nc_u32_e32 v7, s15, v1
	v_cndmask_b32_e32 v1, v4, v3, vcc_lo
	v_mov_b32_e32 v4, 0
	s_inst_prefetch 0x1
	s_branch .LBB18_14
	.p2align	6
.LBB18_13:                              ;   in Loop: Header=BB18_14 Depth=1
	s_or_b32 exec_lo, exec_lo, s15
	v_add_nc_u32_e32 v7, 50, v7
	s_add_i32 s14, s14, 2
	s_cmp_ge_i32 s14, s7
	s_cbranch_scc1 .LBB18_16
.LBB18_14:                              ; =>This Inner Loop Header: Depth=1
	v_add_nc_u32_sdwa v2, v6, s14 dst_sel:DWORD dst_unused:UNUSED_PAD src0_sel:WORD_1 src1_sel:DWORD
	s_mov_b32 s15, exec_lo
	v_cmpx_gt_i32_e64 s7, v2
	s_cbranch_execz .LBB18_13
; %bb.15:                               ;   in Loop: Header=BB18_14 Depth=1
	v_ashrrev_i32_e32 v3, 31, v2
	v_lshlrev_b64 v[2:3], 2, v[2:3]
	s_waitcnt lgkmcnt(0)
	v_add_co_u32 v2, vcc_lo, s0, v2
	v_add_co_ci_u32_e64 v3, null, s1, v3, vcc_lo
	global_load_dword v2, v[2:3], off
	s_waitcnt vmcnt(0)
	v_subrev_nc_u32_e32 v2, s10, v2
	v_mad_u64_u32 v[2:3], null, v2, 5, v[1:2]
	v_ashrrev_i32_e32 v3, 31, v2
	v_add_co_u32 v2, vcc_lo, s4, v2
	v_add_co_ci_u32_e64 v3, null, s5, v3, vcc_lo
	global_load_sbyte v8, v7, s[2:3]
	global_load_sbyte v2, v[2:3], off
	s_waitcnt vmcnt(0)
	v_mad_i32_i24 v4, v2, v8, v4
	s_branch .LBB18_13
.LBB18_16:
	s_inst_prefetch 0x2
	v_lshlrev_b32_e32 v1, 2, v0
	s_and_b32 vcc_lo, exec_lo, s13
	ds_write_b32 v1, v4
	s_waitcnt lgkmcnt(0)
	buffer_gl0_inv
	s_cbranch_vccz .LBB18_26
; %bb.17:
	s_mov_b32 s0, exec_lo
	v_cmpx_gt_u32_e32 25, v0
	s_cbranch_execz .LBB18_19
; %bb.18:
	ds_read2_b32 v[2:3], v1 offset1:25
	s_waitcnt lgkmcnt(0)
	v_add_nc_u32_e32 v2, v2, v3
	ds_write_b32 v1, v2
.LBB18_19:
	s_or_b32 exec_lo, exec_lo, s0
	s_mov_b32 s0, exec_lo
	s_waitcnt lgkmcnt(0)
	buffer_gl0_inv
	v_cmpx_eq_u16_e32 0, v5
	s_cbranch_execz .LBB18_21
; %bb.20:
	ds_read2_b32 v[2:3], v1 offset1:4
	s_waitcnt lgkmcnt(0)
	v_add_nc_u32_e32 v2, v2, v3
	ds_write_b32 v1, v2
.LBB18_21:
	s_or_b32 exec_lo, exec_lo, s0
	s_mov_b32 s0, exec_lo
	s_waitcnt lgkmcnt(0)
	buffer_gl0_inv
	v_cmpx_gt_u16_e32 2, v5
	s_cbranch_execz .LBB18_23
; %bb.22:
	ds_read2_b32 v[2:3], v1 offset1:2
	s_waitcnt lgkmcnt(0)
	v_add_nc_u32_e32 v2, v2, v3
	ds_write_b32 v1, v2
.LBB18_23:
	s_or_b32 exec_lo, exec_lo, s0
	v_mov_b32_e32 v2, v4
	s_mov_b32 s0, exec_lo
	s_waitcnt lgkmcnt(0)
	buffer_gl0_inv
	v_cmpx_gt_u32_e32 5, v0
	s_cbranch_execz .LBB18_25
; %bb.24:
	v_lshl_add_u32 v2, v0, 4, v1
	ds_read2_b32 v[2:3], v2 offset1:1
	s_waitcnt lgkmcnt(0)
	v_add_nc_u32_e32 v2, v3, v2
.LBB18_25:
	s_or_b32 exec_lo, exec_lo, s0
	s_branch .LBB18_36
.LBB18_26:
                                        ; implicit-def: $vgpr2
	s_cbranch_execz .LBB18_36
; %bb.27:
	v_cmp_gt_u32_e32 vcc_lo, 10, v0
	s_and_saveexec_b32 s0, vcc_lo
	s_cbranch_execz .LBB18_29
; %bb.28:
	ds_read2_b32 v[2:3], v1 offset1:40
	s_waitcnt lgkmcnt(0)
	v_add_nc_u32_e32 v2, v2, v3
	ds_write_b32 v1, v2
.LBB18_29:
	s_or_b32 exec_lo, exec_lo, s0
	s_mov_b32 s1, exec_lo
	s_waitcnt lgkmcnt(0)
	buffer_gl0_inv
	v_cmpx_gt_u32_e32 20, v0
	s_cbranch_execz .LBB18_31
; %bb.30:
	ds_read2_b32 v[2:3], v1 offset1:20
	s_waitcnt lgkmcnt(0)
	v_add_nc_u32_e32 v2, v2, v3
	ds_write_b32 v1, v2
.LBB18_31:
	s_or_b32 exec_lo, exec_lo, s1
	s_waitcnt lgkmcnt(0)
	buffer_gl0_inv
	s_and_saveexec_b32 s0, vcc_lo
	s_cbranch_execz .LBB18_33
; %bb.32:
	ds_read2_b32 v[2:3], v1 offset1:10
	s_waitcnt lgkmcnt(0)
	v_add_nc_u32_e32 v2, v2, v3
	ds_write_b32 v1, v2
.LBB18_33:
	s_or_b32 exec_lo, exec_lo, s0
	s_mov_b32 s0, exec_lo
	s_waitcnt lgkmcnt(0)
	buffer_gl0_inv
	v_cmpx_gt_u32_e32 5, v0
	s_cbranch_execz .LBB18_35
; %bb.34:
	ds_read2_b32 v[1:2], v1 offset1:5
	s_waitcnt lgkmcnt(0)
	v_add_nc_u32_e32 v4, v2, v1
.LBB18_35:
	s_or_b32 exec_lo, exec_lo, s0
	v_mov_b32_e32 v2, v4
.LBB18_36:
	s_mov_b32 s0, exec_lo
	v_cmpx_gt_u32_e32 5, v0
	s_cbranch_execz .LBB18_40
; %bb.37:
	v_mul_lo_u32 v1, v2, s11
	s_cmp_eq_u32 s12, 0
	s_mov_b32 s0, 0
	s_cbranch_scc1 .LBB18_41
; %bb.38:
	v_mad_u64_u32 v[2:3], null, s6, 5, v[0:1]
	v_mov_b32_e32 v3, 0
	v_lshlrev_b64 v[2:3], 2, v[2:3]
	v_add_co_u32 v2, vcc_lo, s8, v2
	v_add_co_ci_u32_e64 v3, null, s9, v3, vcc_lo
	global_load_dword v4, v[2:3], off
	s_waitcnt vmcnt(0)
	v_mad_u64_u32 v[4:5], null, v4, s12, v[1:2]
	global_store_dword v[2:3], v4, off
	s_andn2_b32 vcc_lo, exec_lo, s0
	s_cbranch_vccnz .LBB18_40
.LBB18_39:
	v_mad_u64_u32 v[2:3], null, s6, 5, v[0:1]
	v_mov_b32_e32 v3, 0
	v_lshlrev_b64 v[2:3], 2, v[2:3]
	v_add_co_u32 v2, vcc_lo, s8, v2
	v_add_co_ci_u32_e64 v3, null, s9, v3, vcc_lo
	global_store_dword v[2:3], v1, off
.LBB18_40:
	s_endpgm
.LBB18_41:
	s_branch .LBB18_39
	.section	.rodata,"a",@progbits
	.p2align	6, 0x0
	.amdhsa_kernel _ZN9rocsparseL18bsrxmvn_5x5_kernelILj50EiiiaaiEEvT2_20rocsparse_direction_NS_24const_host_device_scalarIT0_EES1_PKS1_PKT1_SA_S7_PKT3_PKT4_S5_PT5_21rocsparse_index_base_b
		.amdhsa_group_segment_fixed_size 200
		.amdhsa_private_segment_fixed_size 0
		.amdhsa_kernarg_size 96
		.amdhsa_user_sgpr_count 6
		.amdhsa_user_sgpr_private_segment_buffer 1
		.amdhsa_user_sgpr_dispatch_ptr 0
		.amdhsa_user_sgpr_queue_ptr 0
		.amdhsa_user_sgpr_kernarg_segment_ptr 1
		.amdhsa_user_sgpr_dispatch_id 0
		.amdhsa_user_sgpr_flat_scratch_init 0
		.amdhsa_user_sgpr_private_segment_size 0
		.amdhsa_wavefront_size32 1
		.amdhsa_uses_dynamic_stack 0
		.amdhsa_system_sgpr_private_segment_wavefront_offset 0
		.amdhsa_system_sgpr_workgroup_id_x 1
		.amdhsa_system_sgpr_workgroup_id_y 0
		.amdhsa_system_sgpr_workgroup_id_z 0
		.amdhsa_system_sgpr_workgroup_info 0
		.amdhsa_system_vgpr_workitem_id 0
		.amdhsa_next_free_vgpr 9
		.amdhsa_next_free_sgpr 16
		.amdhsa_reserve_vcc 1
		.amdhsa_reserve_flat_scratch 0
		.amdhsa_float_round_mode_32 0
		.amdhsa_float_round_mode_16_64 0
		.amdhsa_float_denorm_mode_32 3
		.amdhsa_float_denorm_mode_16_64 3
		.amdhsa_dx10_clamp 1
		.amdhsa_ieee_mode 1
		.amdhsa_fp16_overflow 0
		.amdhsa_workgroup_processor_mode 1
		.amdhsa_memory_ordered 1
		.amdhsa_forward_progress 1
		.amdhsa_shared_vgpr_count 0
		.amdhsa_exception_fp_ieee_invalid_op 0
		.amdhsa_exception_fp_denorm_src 0
		.amdhsa_exception_fp_ieee_div_zero 0
		.amdhsa_exception_fp_ieee_overflow 0
		.amdhsa_exception_fp_ieee_underflow 0
		.amdhsa_exception_fp_ieee_inexact 0
		.amdhsa_exception_int_div_zero 0
	.end_amdhsa_kernel
	.section	.text._ZN9rocsparseL18bsrxmvn_5x5_kernelILj50EiiiaaiEEvT2_20rocsparse_direction_NS_24const_host_device_scalarIT0_EES1_PKS1_PKT1_SA_S7_PKT3_PKT4_S5_PT5_21rocsparse_index_base_b,"axG",@progbits,_ZN9rocsparseL18bsrxmvn_5x5_kernelILj50EiiiaaiEEvT2_20rocsparse_direction_NS_24const_host_device_scalarIT0_EES1_PKS1_PKT1_SA_S7_PKT3_PKT4_S5_PT5_21rocsparse_index_base_b,comdat
.Lfunc_end18:
	.size	_ZN9rocsparseL18bsrxmvn_5x5_kernelILj50EiiiaaiEEvT2_20rocsparse_direction_NS_24const_host_device_scalarIT0_EES1_PKS1_PKT1_SA_S7_PKT3_PKT4_S5_PT5_21rocsparse_index_base_b, .Lfunc_end18-_ZN9rocsparseL18bsrxmvn_5x5_kernelILj50EiiiaaiEEvT2_20rocsparse_direction_NS_24const_host_device_scalarIT0_EES1_PKS1_PKT1_SA_S7_PKT3_PKT4_S5_PT5_21rocsparse_index_base_b
                                        ; -- End function
	.set _ZN9rocsparseL18bsrxmvn_5x5_kernelILj50EiiiaaiEEvT2_20rocsparse_direction_NS_24const_host_device_scalarIT0_EES1_PKS1_PKT1_SA_S7_PKT3_PKT4_S5_PT5_21rocsparse_index_base_b.num_vgpr, 9
	.set _ZN9rocsparseL18bsrxmvn_5x5_kernelILj50EiiiaaiEEvT2_20rocsparse_direction_NS_24const_host_device_scalarIT0_EES1_PKS1_PKT1_SA_S7_PKT3_PKT4_S5_PT5_21rocsparse_index_base_b.num_agpr, 0
	.set _ZN9rocsparseL18bsrxmvn_5x5_kernelILj50EiiiaaiEEvT2_20rocsparse_direction_NS_24const_host_device_scalarIT0_EES1_PKS1_PKT1_SA_S7_PKT3_PKT4_S5_PT5_21rocsparse_index_base_b.numbered_sgpr, 16
	.set _ZN9rocsparseL18bsrxmvn_5x5_kernelILj50EiiiaaiEEvT2_20rocsparse_direction_NS_24const_host_device_scalarIT0_EES1_PKS1_PKT1_SA_S7_PKT3_PKT4_S5_PT5_21rocsparse_index_base_b.num_named_barrier, 0
	.set _ZN9rocsparseL18bsrxmvn_5x5_kernelILj50EiiiaaiEEvT2_20rocsparse_direction_NS_24const_host_device_scalarIT0_EES1_PKS1_PKT1_SA_S7_PKT3_PKT4_S5_PT5_21rocsparse_index_base_b.private_seg_size, 0
	.set _ZN9rocsparseL18bsrxmvn_5x5_kernelILj50EiiiaaiEEvT2_20rocsparse_direction_NS_24const_host_device_scalarIT0_EES1_PKS1_PKT1_SA_S7_PKT3_PKT4_S5_PT5_21rocsparse_index_base_b.uses_vcc, 1
	.set _ZN9rocsparseL18bsrxmvn_5x5_kernelILj50EiiiaaiEEvT2_20rocsparse_direction_NS_24const_host_device_scalarIT0_EES1_PKS1_PKT1_SA_S7_PKT3_PKT4_S5_PT5_21rocsparse_index_base_b.uses_flat_scratch, 0
	.set _ZN9rocsparseL18bsrxmvn_5x5_kernelILj50EiiiaaiEEvT2_20rocsparse_direction_NS_24const_host_device_scalarIT0_EES1_PKS1_PKT1_SA_S7_PKT3_PKT4_S5_PT5_21rocsparse_index_base_b.has_dyn_sized_stack, 0
	.set _ZN9rocsparseL18bsrxmvn_5x5_kernelILj50EiiiaaiEEvT2_20rocsparse_direction_NS_24const_host_device_scalarIT0_EES1_PKS1_PKT1_SA_S7_PKT3_PKT4_S5_PT5_21rocsparse_index_base_b.has_recursion, 0
	.set _ZN9rocsparseL18bsrxmvn_5x5_kernelILj50EiiiaaiEEvT2_20rocsparse_direction_NS_24const_host_device_scalarIT0_EES1_PKS1_PKT1_SA_S7_PKT3_PKT4_S5_PT5_21rocsparse_index_base_b.has_indirect_call, 0
	.section	.AMDGPU.csdata,"",@progbits
; Kernel info:
; codeLenInByte = 1252
; TotalNumSgprs: 18
; NumVgprs: 9
; ScratchSize: 0
; MemoryBound: 0
; FloatMode: 240
; IeeeMode: 1
; LDSByteSize: 200 bytes/workgroup (compile time only)
; SGPRBlocks: 0
; VGPRBlocks: 1
; NumSGPRsForWavesPerEU: 18
; NumVGPRsForWavesPerEU: 9
; Occupancy: 16
; WaveLimiterHint : 1
; COMPUTE_PGM_RSRC2:SCRATCH_EN: 0
; COMPUTE_PGM_RSRC2:USER_SGPR: 6
; COMPUTE_PGM_RSRC2:TRAP_HANDLER: 0
; COMPUTE_PGM_RSRC2:TGID_X_EN: 1
; COMPUTE_PGM_RSRC2:TGID_Y_EN: 0
; COMPUTE_PGM_RSRC2:TGID_Z_EN: 0
; COMPUTE_PGM_RSRC2:TIDIG_COMP_CNT: 0
	.section	.text._ZN9rocsparseL18bsrxmvn_5x5_kernelILj50EiliaaiEEvT2_20rocsparse_direction_NS_24const_host_device_scalarIT0_EES1_PKS1_PKT1_SA_S7_PKT3_PKT4_S5_PT5_21rocsparse_index_base_b,"axG",@progbits,_ZN9rocsparseL18bsrxmvn_5x5_kernelILj50EiliaaiEEvT2_20rocsparse_direction_NS_24const_host_device_scalarIT0_EES1_PKS1_PKT1_SA_S7_PKT3_PKT4_S5_PT5_21rocsparse_index_base_b,comdat
	.globl	_ZN9rocsparseL18bsrxmvn_5x5_kernelILj50EiliaaiEEvT2_20rocsparse_direction_NS_24const_host_device_scalarIT0_EES1_PKS1_PKT1_SA_S7_PKT3_PKT4_S5_PT5_21rocsparse_index_base_b ; -- Begin function _ZN9rocsparseL18bsrxmvn_5x5_kernelILj50EiliaaiEEvT2_20rocsparse_direction_NS_24const_host_device_scalarIT0_EES1_PKS1_PKT1_SA_S7_PKT3_PKT4_S5_PT5_21rocsparse_index_base_b
	.p2align	8
	.type	_ZN9rocsparseL18bsrxmvn_5x5_kernelILj50EiliaaiEEvT2_20rocsparse_direction_NS_24const_host_device_scalarIT0_EES1_PKS1_PKT1_SA_S7_PKT3_PKT4_S5_PT5_21rocsparse_index_base_b,@function
_ZN9rocsparseL18bsrxmvn_5x5_kernelILj50EiliaaiEEvT2_20rocsparse_direction_NS_24const_host_device_scalarIT0_EES1_PKS1_PKT1_SA_S7_PKT3_PKT4_S5_PT5_21rocsparse_index_base_b: ; @_ZN9rocsparseL18bsrxmvn_5x5_kernelILj50EiliaaiEEvT2_20rocsparse_direction_NS_24const_host_device_scalarIT0_EES1_PKS1_PKT1_SA_S7_PKT3_PKT4_S5_PT5_21rocsparse_index_base_b
; %bb.0:
	s_clause 0x1
	s_load_dwordx2 s[8:9], s[4:5], 0x58
	s_load_dwordx2 s[2:3], s[4:5], 0x8
	s_mov_b32 s10, -1
	s_waitcnt lgkmcnt(0)
	s_bitcmp1_b32 s9, 0
                                        ; implicit-def: $sgpr9
	s_cselect_b32 s0, -1, 0
	s_xor_b32 s7, s0, -1
	s_and_b32 vcc_lo, exec_lo, s7
	s_cbranch_vccnz .LBB19_4
; %bb.1:
	s_load_dwordx2 s[0:1], s[4:5], 0x48
	s_andn2_b32 vcc_lo, exec_lo, s10
	s_cbranch_vccz .LBB19_5
.LBB19_2:
	s_and_b32 vcc_lo, exec_lo, s7
	s_cbranch_vccz .LBB19_6
.LBB19_3:
	s_waitcnt lgkmcnt(0)
	s_load_dword s14, s[0:1], 0x0
	s_cbranch_execz .LBB19_7
	s_branch .LBB19_8
.LBB19_4:
	s_load_dword s9, s[2:3], 0x0
	s_load_dwordx2 s[0:1], s[4:5], 0x48
	s_cbranch_execnz .LBB19_2
.LBB19_5:
	s_waitcnt lgkmcnt(0)
	s_mov_b32 s9, s2
	s_and_b32 vcc_lo, exec_lo, s7
	s_cbranch_vccnz .LBB19_3
.LBB19_6:
	s_waitcnt lgkmcnt(0)
                                        ; implicit-def: $sgpr14
.LBB19_7:
	s_waitcnt lgkmcnt(0)
	s_mov_b32 s14, s0
.LBB19_8:
	s_cmp_lg_u32 s9, 0
	s_cselect_b32 s0, -1, 0
	s_waitcnt lgkmcnt(0)
	s_cmp_lg_u32 s14, 1
	s_cselect_b32 s1, -1, 0
	s_or_b32 s0, s0, s1
	s_andn2_b32 vcc_lo, exec_lo, s0
	s_cbranch_vccnz .LBB19_40
; %bb.9:
	s_clause 0x1
	s_load_dwordx4 s[0:3], s[4:5], 0x18
	s_load_dwordx2 s[10:11], s[4:5], 0x28
	s_waitcnt lgkmcnt(0)
	s_cmp_eq_u64 s[0:1], 0
	s_cbranch_scc1 .LBB19_11
; %bb.10:
	s_ashr_i32 s7, s6, 31
	s_lshl_b64 s[6:7], s[6:7], 2
	s_add_u32 s0, s0, s6
	s_addc_u32 s1, s1, s7
	s_load_dword s0, s[0:1], 0x0
	s_waitcnt lgkmcnt(0)
	s_sub_i32 s6, s0, s8
.LBB19_11:
	s_load_dword s1, s[4:5], 0x4
	v_mul_u32_u24_e32 v1, 0x3334, v0
	v_lshrrev_b32_e32 v2, 16, v1
	v_mul_lo_u16 v1, v2, 5
	v_sub_nc_u16 v7, v0, v1
	v_mov_b32_e32 v1, 0
	s_waitcnt lgkmcnt(0)
	s_cmp_eq_u32 s1, 1
	s_cselect_b32 s0, -1, 0
	s_cmp_lg_u32 s1, 1
	s_cselect_b32 s15, -1, 0
	s_ashr_i32 s7, s6, 31
	s_lshl_b64 s[12:13], s[6:7], 3
	s_add_u32 s2, s2, s12
	s_addc_u32 s3, s3, s13
	s_add_u32 s1, s2, 8
	s_addc_u32 s7, s3, 0
	;; [unrolled: 2-line block ×3, first 2 shown]
	s_cmp_eq_u64 s[10:11], 0
	s_cselect_b32 s11, s7, s13
	s_cselect_b32 s10, s1, s12
	s_load_dwordx2 s[12:13], s[2:3], 0x0
	s_load_dwordx2 s[10:11], s[10:11], 0x0
	;; [unrolled: 1-line block ×3, first 2 shown]
	s_waitcnt lgkmcnt(0)
	v_cmp_ge_i64_e64 s1, s[12:13], s[10:11]
	s_and_b32 vcc_lo, exec_lo, s1
	s_cbranch_vccnz .LBB19_16
; %bb.12:
	v_mul_lo_u16 v1, v2, 52
	v_mov_b32_e32 v5, 0xa3e
	s_clause 0x1
	s_load_dwordx4 s[16:19], s[4:5], 0x30
	s_load_dwordx2 s[4:5], s[4:5], 0x40
	v_and_b32_e32 v9, 0xffff, v7
	s_mul_i32 s7, s8, 25
	v_lshrrev_b16 v3, 8, v1
	v_mov_b32_e32 v1, 0
	v_mul_u32_u24_sdwa v5, v0, v5 dst_sel:DWORD dst_unused:UNUSED_PAD src0_sel:WORD_0 src1_sel:DWORD
	s_mul_hi_u32 s1, s8, 25
	s_sub_u32 s10, s10, s8
	v_mul_lo_u16 v6, v3, 5
	v_mad_u64_u32 v[3:4], null, s12, 25, v[0:1]
	v_lshrrev_b32_e32 v8, 16, v5
	s_subb_u32 s11, s11, 0
	v_sub_nc_u16 v6, v2, v6
	v_add_co_u32 v10, s20, s12, v8
	v_mov_b32_e32 v2, v4
	v_and_b32_e32 v6, 0xff, v6
	v_add_co_ci_u32_e64 v11, null, s13, 0, s20
	v_mad_u64_u32 v[4:5], null, s13, 25, v[2:3]
	v_sub_co_u32 v5, vcc_lo, v10, s8
	v_cndmask_b32_e64 v2, v9, v6, s0
	v_subrev_co_ci_u32_e64 v6, null, 0, v11, vcc_lo
	v_sub_co_u32 v3, vcc_lo, v3, s7
	v_subrev_co_ci_u32_e64 v4, null, s1, v4, vcc_lo
	v_lshlrev_b64 v[5:6], 2, v[5:6]
	s_waitcnt lgkmcnt(0)
	v_add_co_u32 v3, vcc_lo, s18, v3
	v_add_co_ci_u32_e64 v4, null, s19, v4, vcc_lo
	s_sub_u32 s0, s12, s8
	v_add_co_u32 v5, vcc_lo, s16, v5
	v_add_co_ci_u32_e64 v6, null, s17, v6, vcc_lo
	s_subb_u32 s1, s13, 0
	s_inst_prefetch 0x1
	s_branch .LBB19_14
	.p2align	6
.LBB19_13:                              ;   in Loop: Header=BB19_14 Depth=1
	s_or_b32 exec_lo, exec_lo, s7
	s_add_u32 s0, s0, 2
	s_addc_u32 s1, s1, 0
	v_add_co_u32 v3, vcc_lo, v3, 50
	v_cmp_ge_i64_e64 s7, s[0:1], s[10:11]
	v_add_co_ci_u32_e64 v4, null, 0, v4, vcc_lo
	v_add_co_u32 v5, vcc_lo, v5, 8
	v_add_co_ci_u32_e64 v6, null, 0, v6, vcc_lo
	s_and_b32 vcc_lo, exec_lo, s7
	s_cbranch_vccnz .LBB19_16
.LBB19_14:                              ; =>This Inner Loop Header: Depth=1
	v_add_co_u32 v9, s7, v8, s0
	v_add_co_ci_u32_e64 v10, null, 0, s1, s7
	s_mov_b32 s7, exec_lo
	v_cmpx_gt_i64_e64 s[10:11], v[9:10]
	s_cbranch_execz .LBB19_13
; %bb.15:                               ;   in Loop: Header=BB19_14 Depth=1
	global_load_dword v9, v[5:6], off
	s_waitcnt vmcnt(0)
	v_subrev_nc_u32_e32 v9, s8, v9
	v_mad_u64_u32 v[9:10], null, v9, 5, v[2:3]
	v_ashrrev_i32_e32 v10, 31, v9
	v_add_co_u32 v9, vcc_lo, s4, v9
	v_add_co_ci_u32_e64 v10, null, s5, v10, vcc_lo
	global_load_sbyte v11, v[3:4], off
	global_load_sbyte v9, v[9:10], off
	s_waitcnt vmcnt(0)
	v_mad_i32_i24 v1, v9, v11, v1
	s_branch .LBB19_13
.LBB19_16:
	s_inst_prefetch 0x2
	v_lshlrev_b32_e32 v2, 2, v0
	s_and_b32 vcc_lo, exec_lo, s15
	ds_write_b32 v2, v1
	s_waitcnt lgkmcnt(0)
	buffer_gl0_inv
	s_cbranch_vccz .LBB19_26
; %bb.17:
	s_mov_b32 s0, exec_lo
	v_cmpx_gt_u32_e32 25, v0
	s_cbranch_execz .LBB19_19
; %bb.18:
	ds_read2_b32 v[3:4], v2 offset1:25
	s_waitcnt lgkmcnt(0)
	v_add_nc_u32_e32 v3, v3, v4
	ds_write_b32 v2, v3
.LBB19_19:
	s_or_b32 exec_lo, exec_lo, s0
	s_mov_b32 s0, exec_lo
	s_waitcnt lgkmcnt(0)
	buffer_gl0_inv
	v_cmpx_eq_u16_e32 0, v7
	s_cbranch_execz .LBB19_21
; %bb.20:
	ds_read2_b32 v[3:4], v2 offset1:4
	s_waitcnt lgkmcnt(0)
	v_add_nc_u32_e32 v3, v3, v4
	ds_write_b32 v2, v3
.LBB19_21:
	s_or_b32 exec_lo, exec_lo, s0
	s_mov_b32 s0, exec_lo
	s_waitcnt lgkmcnt(0)
	buffer_gl0_inv
	v_cmpx_gt_u16_e32 2, v7
	s_cbranch_execz .LBB19_23
; %bb.22:
	ds_read2_b32 v[3:4], v2 offset1:2
	s_waitcnt lgkmcnt(0)
	v_add_nc_u32_e32 v3, v3, v4
	ds_write_b32 v2, v3
.LBB19_23:
	s_or_b32 exec_lo, exec_lo, s0
	v_mov_b32_e32 v3, v1
	s_mov_b32 s0, exec_lo
	s_waitcnt lgkmcnt(0)
	buffer_gl0_inv
	v_cmpx_gt_u32_e32 5, v0
	s_cbranch_execz .LBB19_25
; %bb.24:
	v_lshl_add_u32 v3, v0, 4, v2
	ds_read2_b32 v[3:4], v3 offset1:1
	s_waitcnt lgkmcnt(0)
	v_add_nc_u32_e32 v3, v4, v3
.LBB19_25:
	s_or_b32 exec_lo, exec_lo, s0
	s_branch .LBB19_36
.LBB19_26:
                                        ; implicit-def: $vgpr3
	s_cbranch_execz .LBB19_36
; %bb.27:
	v_cmp_gt_u32_e32 vcc_lo, 10, v0
	s_and_saveexec_b32 s0, vcc_lo
	s_cbranch_execz .LBB19_29
; %bb.28:
	ds_read2_b32 v[3:4], v2 offset1:40
	s_waitcnt lgkmcnt(0)
	v_add_nc_u32_e32 v3, v3, v4
	ds_write_b32 v2, v3
.LBB19_29:
	s_or_b32 exec_lo, exec_lo, s0
	s_mov_b32 s1, exec_lo
	s_waitcnt lgkmcnt(0)
	buffer_gl0_inv
	v_cmpx_gt_u32_e32 20, v0
	s_cbranch_execz .LBB19_31
; %bb.30:
	ds_read2_b32 v[3:4], v2 offset1:20
	s_waitcnt lgkmcnt(0)
	v_add_nc_u32_e32 v3, v3, v4
	ds_write_b32 v2, v3
.LBB19_31:
	s_or_b32 exec_lo, exec_lo, s1
	s_waitcnt lgkmcnt(0)
	buffer_gl0_inv
	s_and_saveexec_b32 s0, vcc_lo
	s_cbranch_execz .LBB19_33
; %bb.32:
	ds_read2_b32 v[3:4], v2 offset1:10
	s_waitcnt lgkmcnt(0)
	v_add_nc_u32_e32 v3, v3, v4
	ds_write_b32 v2, v3
.LBB19_33:
	s_or_b32 exec_lo, exec_lo, s0
	s_mov_b32 s0, exec_lo
	s_waitcnt lgkmcnt(0)
	buffer_gl0_inv
	v_cmpx_gt_u32_e32 5, v0
	s_cbranch_execz .LBB19_35
; %bb.34:
	ds_read2_b32 v[1:2], v2 offset1:5
	s_waitcnt lgkmcnt(0)
	v_add_nc_u32_e32 v1, v2, v1
.LBB19_35:
	s_or_b32 exec_lo, exec_lo, s0
	v_mov_b32_e32 v3, v1
.LBB19_36:
	s_mov_b32 s0, exec_lo
	v_cmpx_gt_u32_e32 5, v0
	s_cbranch_execz .LBB19_40
; %bb.37:
	v_mul_lo_u32 v1, v3, s9
	s_cmp_eq_u32 s14, 0
	s_mov_b32 s0, 0
	s_cbranch_scc1 .LBB19_41
; %bb.38:
	v_mad_u64_u32 v[2:3], null, s6, 5, v[0:1]
	v_mov_b32_e32 v3, 0
	v_lshlrev_b64 v[2:3], 2, v[2:3]
	v_add_co_u32 v2, vcc_lo, s2, v2
	v_add_co_ci_u32_e64 v3, null, s3, v3, vcc_lo
	global_load_dword v4, v[2:3], off
	s_waitcnt vmcnt(0)
	v_mad_u64_u32 v[4:5], null, v4, s14, v[1:2]
	global_store_dword v[2:3], v4, off
	s_andn2_b32 vcc_lo, exec_lo, s0
	s_cbranch_vccnz .LBB19_40
.LBB19_39:
	v_mad_u64_u32 v[2:3], null, s6, 5, v[0:1]
	v_mov_b32_e32 v3, 0
	v_lshlrev_b64 v[2:3], 2, v[2:3]
	v_add_co_u32 v2, vcc_lo, s2, v2
	v_add_co_ci_u32_e64 v3, null, s3, v3, vcc_lo
	global_store_dword v[2:3], v1, off
.LBB19_40:
	s_endpgm
.LBB19_41:
	s_branch .LBB19_39
	.section	.rodata,"a",@progbits
	.p2align	6, 0x0
	.amdhsa_kernel _ZN9rocsparseL18bsrxmvn_5x5_kernelILj50EiliaaiEEvT2_20rocsparse_direction_NS_24const_host_device_scalarIT0_EES1_PKS1_PKT1_SA_S7_PKT3_PKT4_S5_PT5_21rocsparse_index_base_b
		.amdhsa_group_segment_fixed_size 200
		.amdhsa_private_segment_fixed_size 0
		.amdhsa_kernarg_size 96
		.amdhsa_user_sgpr_count 6
		.amdhsa_user_sgpr_private_segment_buffer 1
		.amdhsa_user_sgpr_dispatch_ptr 0
		.amdhsa_user_sgpr_queue_ptr 0
		.amdhsa_user_sgpr_kernarg_segment_ptr 1
		.amdhsa_user_sgpr_dispatch_id 0
		.amdhsa_user_sgpr_flat_scratch_init 0
		.amdhsa_user_sgpr_private_segment_size 0
		.amdhsa_wavefront_size32 1
		.amdhsa_uses_dynamic_stack 0
		.amdhsa_system_sgpr_private_segment_wavefront_offset 0
		.amdhsa_system_sgpr_workgroup_id_x 1
		.amdhsa_system_sgpr_workgroup_id_y 0
		.amdhsa_system_sgpr_workgroup_id_z 0
		.amdhsa_system_sgpr_workgroup_info 0
		.amdhsa_system_vgpr_workitem_id 0
		.amdhsa_next_free_vgpr 12
		.amdhsa_next_free_sgpr 21
		.amdhsa_reserve_vcc 1
		.amdhsa_reserve_flat_scratch 0
		.amdhsa_float_round_mode_32 0
		.amdhsa_float_round_mode_16_64 0
		.amdhsa_float_denorm_mode_32 3
		.amdhsa_float_denorm_mode_16_64 3
		.amdhsa_dx10_clamp 1
		.amdhsa_ieee_mode 1
		.amdhsa_fp16_overflow 0
		.amdhsa_workgroup_processor_mode 1
		.amdhsa_memory_ordered 1
		.amdhsa_forward_progress 1
		.amdhsa_shared_vgpr_count 0
		.amdhsa_exception_fp_ieee_invalid_op 0
		.amdhsa_exception_fp_denorm_src 0
		.amdhsa_exception_fp_ieee_div_zero 0
		.amdhsa_exception_fp_ieee_overflow 0
		.amdhsa_exception_fp_ieee_underflow 0
		.amdhsa_exception_fp_ieee_inexact 0
		.amdhsa_exception_int_div_zero 0
	.end_amdhsa_kernel
	.section	.text._ZN9rocsparseL18bsrxmvn_5x5_kernelILj50EiliaaiEEvT2_20rocsparse_direction_NS_24const_host_device_scalarIT0_EES1_PKS1_PKT1_SA_S7_PKT3_PKT4_S5_PT5_21rocsparse_index_base_b,"axG",@progbits,_ZN9rocsparseL18bsrxmvn_5x5_kernelILj50EiliaaiEEvT2_20rocsparse_direction_NS_24const_host_device_scalarIT0_EES1_PKS1_PKT1_SA_S7_PKT3_PKT4_S5_PT5_21rocsparse_index_base_b,comdat
.Lfunc_end19:
	.size	_ZN9rocsparseL18bsrxmvn_5x5_kernelILj50EiliaaiEEvT2_20rocsparse_direction_NS_24const_host_device_scalarIT0_EES1_PKS1_PKT1_SA_S7_PKT3_PKT4_S5_PT5_21rocsparse_index_base_b, .Lfunc_end19-_ZN9rocsparseL18bsrxmvn_5x5_kernelILj50EiliaaiEEvT2_20rocsparse_direction_NS_24const_host_device_scalarIT0_EES1_PKS1_PKT1_SA_S7_PKT3_PKT4_S5_PT5_21rocsparse_index_base_b
                                        ; -- End function
	.set _ZN9rocsparseL18bsrxmvn_5x5_kernelILj50EiliaaiEEvT2_20rocsparse_direction_NS_24const_host_device_scalarIT0_EES1_PKS1_PKT1_SA_S7_PKT3_PKT4_S5_PT5_21rocsparse_index_base_b.num_vgpr, 12
	.set _ZN9rocsparseL18bsrxmvn_5x5_kernelILj50EiliaaiEEvT2_20rocsparse_direction_NS_24const_host_device_scalarIT0_EES1_PKS1_PKT1_SA_S7_PKT3_PKT4_S5_PT5_21rocsparse_index_base_b.num_agpr, 0
	.set _ZN9rocsparseL18bsrxmvn_5x5_kernelILj50EiliaaiEEvT2_20rocsparse_direction_NS_24const_host_device_scalarIT0_EES1_PKS1_PKT1_SA_S7_PKT3_PKT4_S5_PT5_21rocsparse_index_base_b.numbered_sgpr, 21
	.set _ZN9rocsparseL18bsrxmvn_5x5_kernelILj50EiliaaiEEvT2_20rocsparse_direction_NS_24const_host_device_scalarIT0_EES1_PKS1_PKT1_SA_S7_PKT3_PKT4_S5_PT5_21rocsparse_index_base_b.num_named_barrier, 0
	.set _ZN9rocsparseL18bsrxmvn_5x5_kernelILj50EiliaaiEEvT2_20rocsparse_direction_NS_24const_host_device_scalarIT0_EES1_PKS1_PKT1_SA_S7_PKT3_PKT4_S5_PT5_21rocsparse_index_base_b.private_seg_size, 0
	.set _ZN9rocsparseL18bsrxmvn_5x5_kernelILj50EiliaaiEEvT2_20rocsparse_direction_NS_24const_host_device_scalarIT0_EES1_PKS1_PKT1_SA_S7_PKT3_PKT4_S5_PT5_21rocsparse_index_base_b.uses_vcc, 1
	.set _ZN9rocsparseL18bsrxmvn_5x5_kernelILj50EiliaaiEEvT2_20rocsparse_direction_NS_24const_host_device_scalarIT0_EES1_PKS1_PKT1_SA_S7_PKT3_PKT4_S5_PT5_21rocsparse_index_base_b.uses_flat_scratch, 0
	.set _ZN9rocsparseL18bsrxmvn_5x5_kernelILj50EiliaaiEEvT2_20rocsparse_direction_NS_24const_host_device_scalarIT0_EES1_PKS1_PKT1_SA_S7_PKT3_PKT4_S5_PT5_21rocsparse_index_base_b.has_dyn_sized_stack, 0
	.set _ZN9rocsparseL18bsrxmvn_5x5_kernelILj50EiliaaiEEvT2_20rocsparse_direction_NS_24const_host_device_scalarIT0_EES1_PKS1_PKT1_SA_S7_PKT3_PKT4_S5_PT5_21rocsparse_index_base_b.has_recursion, 0
	.set _ZN9rocsparseL18bsrxmvn_5x5_kernelILj50EiliaaiEEvT2_20rocsparse_direction_NS_24const_host_device_scalarIT0_EES1_PKS1_PKT1_SA_S7_PKT3_PKT4_S5_PT5_21rocsparse_index_base_b.has_indirect_call, 0
	.section	.AMDGPU.csdata,"",@progbits
; Kernel info:
; codeLenInByte = 1396
; TotalNumSgprs: 23
; NumVgprs: 12
; ScratchSize: 0
; MemoryBound: 0
; FloatMode: 240
; IeeeMode: 1
; LDSByteSize: 200 bytes/workgroup (compile time only)
; SGPRBlocks: 0
; VGPRBlocks: 1
; NumSGPRsForWavesPerEU: 23
; NumVGPRsForWavesPerEU: 12
; Occupancy: 16
; WaveLimiterHint : 1
; COMPUTE_PGM_RSRC2:SCRATCH_EN: 0
; COMPUTE_PGM_RSRC2:USER_SGPR: 6
; COMPUTE_PGM_RSRC2:TRAP_HANDLER: 0
; COMPUTE_PGM_RSRC2:TGID_X_EN: 1
; COMPUTE_PGM_RSRC2:TGID_Y_EN: 0
; COMPUTE_PGM_RSRC2:TGID_Z_EN: 0
; COMPUTE_PGM_RSRC2:TIDIG_COMP_CNT: 0
	.section	.text._ZN9rocsparseL18bsrxmvn_5x5_kernelILj50EillaaiEEvT2_20rocsparse_direction_NS_24const_host_device_scalarIT0_EES1_PKS1_PKT1_SA_S7_PKT3_PKT4_S5_PT5_21rocsparse_index_base_b,"axG",@progbits,_ZN9rocsparseL18bsrxmvn_5x5_kernelILj50EillaaiEEvT2_20rocsparse_direction_NS_24const_host_device_scalarIT0_EES1_PKS1_PKT1_SA_S7_PKT3_PKT4_S5_PT5_21rocsparse_index_base_b,comdat
	.globl	_ZN9rocsparseL18bsrxmvn_5x5_kernelILj50EillaaiEEvT2_20rocsparse_direction_NS_24const_host_device_scalarIT0_EES1_PKS1_PKT1_SA_S7_PKT3_PKT4_S5_PT5_21rocsparse_index_base_b ; -- Begin function _ZN9rocsparseL18bsrxmvn_5x5_kernelILj50EillaaiEEvT2_20rocsparse_direction_NS_24const_host_device_scalarIT0_EES1_PKS1_PKT1_SA_S7_PKT3_PKT4_S5_PT5_21rocsparse_index_base_b
	.p2align	8
	.type	_ZN9rocsparseL18bsrxmvn_5x5_kernelILj50EillaaiEEvT2_20rocsparse_direction_NS_24const_host_device_scalarIT0_EES1_PKS1_PKT1_SA_S7_PKT3_PKT4_S5_PT5_21rocsparse_index_base_b,@function
_ZN9rocsparseL18bsrxmvn_5x5_kernelILj50EillaaiEEvT2_20rocsparse_direction_NS_24const_host_device_scalarIT0_EES1_PKS1_PKT1_SA_S7_PKT3_PKT4_S5_PT5_21rocsparse_index_base_b: ; @_ZN9rocsparseL18bsrxmvn_5x5_kernelILj50EillaaiEEvT2_20rocsparse_direction_NS_24const_host_device_scalarIT0_EES1_PKS1_PKT1_SA_S7_PKT3_PKT4_S5_PT5_21rocsparse_index_base_b
; %bb.0:
	s_clause 0x1
	s_load_dwordx2 s[8:9], s[4:5], 0x60
	s_load_dwordx2 s[2:3], s[4:5], 0x10
	s_mov_b32 s10, -1
	s_waitcnt lgkmcnt(0)
	s_bitcmp1_b32 s9, 0
                                        ; implicit-def: $sgpr9
	s_cselect_b32 s0, -1, 0
	s_xor_b32 s7, s0, -1
	s_and_b32 vcc_lo, exec_lo, s7
	s_cbranch_vccnz .LBB20_4
; %bb.1:
	s_load_dwordx2 s[0:1], s[4:5], 0x50
	s_andn2_b32 vcc_lo, exec_lo, s10
	s_cbranch_vccz .LBB20_5
.LBB20_2:
	s_and_b32 vcc_lo, exec_lo, s7
	s_cbranch_vccz .LBB20_6
.LBB20_3:
	s_waitcnt lgkmcnt(0)
	s_load_dword s14, s[0:1], 0x0
	s_cbranch_execz .LBB20_7
	s_branch .LBB20_8
.LBB20_4:
	s_load_dword s9, s[2:3], 0x0
	s_load_dwordx2 s[0:1], s[4:5], 0x50
	s_cbranch_execnz .LBB20_2
.LBB20_5:
	s_waitcnt lgkmcnt(0)
	s_mov_b32 s9, s2
	s_and_b32 vcc_lo, exec_lo, s7
	s_cbranch_vccnz .LBB20_3
.LBB20_6:
	s_waitcnt lgkmcnt(0)
                                        ; implicit-def: $sgpr14
.LBB20_7:
	s_waitcnt lgkmcnt(0)
	s_mov_b32 s14, s0
.LBB20_8:
	s_cmp_lg_u32 s9, 0
	s_mov_b32 s7, 0
	s_cselect_b32 s0, -1, 0
	s_waitcnt lgkmcnt(0)
	s_cmp_lg_u32 s14, 1
	s_cselect_b32 s1, -1, 0
	s_or_b32 s0, s0, s1
	s_andn2_b32 vcc_lo, exec_lo, s0
	s_cbranch_vccnz .LBB20_43
; %bb.9:
	s_clause 0x1
	s_load_dwordx4 s[0:3], s[4:5], 0x20
	s_load_dwordx2 s[10:11], s[4:5], 0x30
	s_waitcnt lgkmcnt(0)
	s_cmp_eq_u64 s[0:1], 0
	s_cbranch_scc1 .LBB20_11
; %bb.10:
	s_lshl_b64 s[6:7], s[6:7], 3
	s_add_u32 s0, s0, s6
	s_addc_u32 s1, s1, s7
	s_load_dwordx2 s[0:1], s[0:1], 0x0
	s_waitcnt lgkmcnt(0)
	s_sub_u32 s6, s0, s8
	s_subb_u32 s7, s1, 0
.LBB20_11:
	s_load_dword s1, s[4:5], 0x8
	v_mul_u32_u24_e32 v1, 0x3334, v0
	v_lshrrev_b32_e32 v2, 16, v1
	v_mul_lo_u16 v3, v2, 5
	s_waitcnt lgkmcnt(0)
	s_cmp_eq_u32 s1, 1
	s_cselect_b32 s0, -1, 0
	s_cmp_lg_u32 s1, 1
	s_cselect_b32 s15, -1, 0
	s_lshl_b64 s[12:13], s[6:7], 3
	s_add_u32 s2, s2, s12
	s_addc_u32 s3, s3, s13
	s_add_u32 s1, s2, 8
	s_addc_u32 s16, s3, 0
	;; [unrolled: 2-line block ×3, first 2 shown]
	s_cmp_eq_u64 s[10:11], 0
	s_cselect_b32 s13, s16, s13
	s_cselect_b32 s12, s1, s12
	s_load_dwordx2 s[10:11], s[2:3], 0x0
	s_load_dwordx2 s[12:13], s[12:13], 0x0
	s_waitcnt lgkmcnt(0)
	v_cmp_lt_i64_e64 s1, s[10:11], s[12:13]
	s_and_b32 vcc_lo, exec_lo, s1
	s_cbranch_vccnz .LBB20_13
; %bb.12:
	v_mov_b32_e32 v1, 0
	s_mov_b32 s1, 0
	s_branch .LBB20_14
.LBB20_13:
	s_mov_b32 s1, -1
.LBB20_14:
	s_load_dwordx2 s[2:3], s[4:5], 0x58
	v_sub_nc_u16 v9, v0, v3
	v_mov_b32_e32 v8, 0
	s_andn2_b32 vcc_lo, exec_lo, s1
	s_cbranch_vccnz .LBB20_19
; %bb.15:
	v_mul_lo_u16 v1, v2, 52
	v_mov_b32_e32 v6, 0xa3e
	s_clause 0x1
	s_load_dwordx4 s[16:19], s[4:5], 0x38
	s_load_dwordx2 s[20:21], s[4:5], 0x48
	s_mul_i32 s5, s8, 25
	s_mul_hi_u32 s1, s8, 25
	v_lshrrev_b16 v1, 8, v1
	s_sub_u32 s4, s12, s8
	v_mul_lo_u16 v3, v1, 5
	v_mov_b32_e32 v1, 0
	v_sub_nc_u16 v2, v2, v3
	v_mul_u32_u24_sdwa v3, v0, v6 dst_sel:DWORD dst_unused:UNUSED_PAD src0_sel:WORD_0 src1_sel:DWORD
	v_mad_u64_u32 v[4:5], null, s10, 25, v[0:1]
	v_and_b32_e32 v6, 0xffff, v9
	v_and_b32_e32 v7, 0xff, v2
	v_lshrrev_b32_e32 v10, 16, v3
	v_mov_b32_e32 v2, v5
	v_cndmask_b32_e64 v3, v6, v7, s0
	v_add_co_u32 v7, s0, s10, v10
	v_add_co_ci_u32_e64 v8, null, s11, 0, s0
	v_mad_u64_u32 v[5:6], null, s11, 25, v[2:3]
	v_sub_co_u32 v6, vcc_lo, v7, s8
	v_subrev_co_ci_u32_e64 v7, null, 0, v8, vcc_lo
	v_sub_co_u32 v4, vcc_lo, v4, s5
	v_subrev_co_ci_u32_e64 v5, null, s1, v5, vcc_lo
	v_lshlrev_b64 v[6:7], 3, v[6:7]
	s_waitcnt lgkmcnt(0)
	v_add_co_u32 v4, vcc_lo, s18, v4
	v_add_co_u32 v2, s0, s20, v3
	v_add_co_ci_u32_e64 v5, null, s19, v5, vcc_lo
	v_add_co_u32 v6, vcc_lo, s16, v6
	v_add_co_ci_u32_e64 v3, null, s21, 0, s0
	v_add_co_ci_u32_e64 v7, null, s17, v7, vcc_lo
	v_mov_b32_e32 v8, v1
	s_subb_u32 s5, s13, 0
	s_sub_u32 s0, s10, s8
	s_subb_u32 s1, s11, 0
	s_inst_prefetch 0x1
	s_branch .LBB20_17
	.p2align	6
.LBB20_16:                              ;   in Loop: Header=BB20_17 Depth=1
	s_or_b32 exec_lo, exec_lo, s10
	s_add_u32 s0, s0, 2
	s_addc_u32 s1, s1, 0
	v_add_co_u32 v4, vcc_lo, v4, 50
	v_cmp_ge_i64_e64 s10, s[0:1], s[4:5]
	v_add_co_ci_u32_e64 v5, null, 0, v5, vcc_lo
	v_add_co_u32 v6, vcc_lo, v6, 16
	v_add_co_ci_u32_e64 v7, null, 0, v7, vcc_lo
	s_and_b32 vcc_lo, exec_lo, s10
	s_cbranch_vccnz .LBB20_19
.LBB20_17:                              ; =>This Inner Loop Header: Depth=1
	v_add_co_u32 v11, s10, v10, s0
	v_add_co_ci_u32_e64 v12, null, 0, s1, s10
	s_mov_b32 s10, exec_lo
	v_cmpx_gt_i64_e64 s[4:5], v[11:12]
	s_cbranch_execz .LBB20_16
; %bb.18:                               ;   in Loop: Header=BB20_17 Depth=1
	global_load_dwordx2 v[11:12], v[6:7], off
	s_waitcnt vmcnt(0)
	v_sub_co_u32 v11, vcc_lo, v11, s8
	v_subrev_co_ci_u32_e64 v13, null, 0, v12, vcc_lo
	v_mad_u64_u32 v[11:12], null, v11, 5, v[2:3]
	v_mad_u64_u32 v[12:13], null, v13, 5, v[12:13]
	global_load_sbyte v13, v[4:5], off
	global_load_sbyte v11, v[11:12], off
	s_waitcnt vmcnt(0)
	v_mad_i32_i24 v8, v11, v13, v8
	s_branch .LBB20_16
.LBB20_19:
	s_inst_prefetch 0x2
	v_lshlrev_b32_e32 v2, 2, v0
	s_and_b32 vcc_lo, exec_lo, s15
	ds_write_b32 v2, v8
	s_waitcnt lgkmcnt(0)
	buffer_gl0_inv
	s_cbranch_vccz .LBB20_29
; %bb.20:
	s_mov_b32 s0, exec_lo
	v_cmpx_gt_u32_e32 25, v0
	s_cbranch_execz .LBB20_22
; %bb.21:
	ds_read2_b32 v[3:4], v2 offset1:25
	s_waitcnt lgkmcnt(0)
	v_add_nc_u32_e32 v3, v3, v4
	ds_write_b32 v2, v3
.LBB20_22:
	s_or_b32 exec_lo, exec_lo, s0
	s_mov_b32 s0, exec_lo
	s_waitcnt lgkmcnt(0)
	buffer_gl0_inv
	v_cmpx_eq_u16_e32 0, v9
	s_cbranch_execz .LBB20_24
; %bb.23:
	ds_read2_b32 v[3:4], v2 offset1:4
	s_waitcnt lgkmcnt(0)
	v_add_nc_u32_e32 v3, v3, v4
	ds_write_b32 v2, v3
.LBB20_24:
	s_or_b32 exec_lo, exec_lo, s0
	s_mov_b32 s0, exec_lo
	s_waitcnt lgkmcnt(0)
	buffer_gl0_inv
	v_cmpx_gt_u16_e32 2, v9
	s_cbranch_execz .LBB20_26
; %bb.25:
	ds_read2_b32 v[3:4], v2 offset1:2
	s_waitcnt lgkmcnt(0)
	v_add_nc_u32_e32 v3, v3, v4
	ds_write_b32 v2, v3
.LBB20_26:
	s_or_b32 exec_lo, exec_lo, s0
	v_mov_b32_e32 v3, v8
	s_mov_b32 s0, exec_lo
	s_waitcnt lgkmcnt(0)
	buffer_gl0_inv
	v_cmpx_gt_u32_e32 5, v0
	s_cbranch_execz .LBB20_28
; %bb.27:
	v_lshl_add_u32 v3, v0, 4, v2
	ds_read2_b32 v[3:4], v3 offset1:1
	s_waitcnt lgkmcnt(0)
	v_add_nc_u32_e32 v3, v4, v3
.LBB20_28:
	s_or_b32 exec_lo, exec_lo, s0
	s_branch .LBB20_39
.LBB20_29:
                                        ; implicit-def: $vgpr3
	s_cbranch_execz .LBB20_39
; %bb.30:
	v_cmp_gt_u32_e32 vcc_lo, 10, v0
	s_and_saveexec_b32 s0, vcc_lo
	s_cbranch_execz .LBB20_32
; %bb.31:
	ds_read2_b32 v[3:4], v2 offset1:40
	s_waitcnt lgkmcnt(0)
	v_add_nc_u32_e32 v3, v3, v4
	ds_write_b32 v2, v3
.LBB20_32:
	s_or_b32 exec_lo, exec_lo, s0
	s_mov_b32 s1, exec_lo
	s_waitcnt lgkmcnt(0)
	buffer_gl0_inv
	v_cmpx_gt_u32_e32 20, v0
	s_cbranch_execz .LBB20_34
; %bb.33:
	ds_read2_b32 v[3:4], v2 offset1:20
	s_waitcnt lgkmcnt(0)
	v_add_nc_u32_e32 v3, v3, v4
	ds_write_b32 v2, v3
.LBB20_34:
	s_or_b32 exec_lo, exec_lo, s1
	s_waitcnt lgkmcnt(0)
	buffer_gl0_inv
	s_and_saveexec_b32 s0, vcc_lo
	s_cbranch_execz .LBB20_36
; %bb.35:
	ds_read2_b32 v[3:4], v2 offset1:10
	s_waitcnt lgkmcnt(0)
	v_add_nc_u32_e32 v3, v3, v4
	ds_write_b32 v2, v3
.LBB20_36:
	s_or_b32 exec_lo, exec_lo, s0
	s_mov_b32 s0, exec_lo
	s_waitcnt lgkmcnt(0)
	buffer_gl0_inv
	v_cmpx_gt_u32_e32 5, v0
	s_cbranch_execz .LBB20_38
; %bb.37:
	ds_read2_b32 v[2:3], v2 offset1:5
	s_waitcnt lgkmcnt(0)
	v_add_nc_u32_e32 v8, v3, v2
.LBB20_38:
	s_or_b32 exec_lo, exec_lo, s0
	v_mov_b32_e32 v3, v8
.LBB20_39:
	s_mov_b32 s0, exec_lo
	v_cmpx_gt_u32_e32 5, v0
	s_cbranch_execz .LBB20_43
; %bb.40:
	v_mul_lo_u32 v2, v3, s9
	v_lshlrev_b64 v[0:1], 2, v[0:1]
	s_mov_b32 s0, 0
	s_cmp_eq_u32 s14, 0
	s_mul_i32 s1, s7, 20
	s_mul_hi_u32 s4, s6, 20
	s_mul_i32 s5, s6, 20
	s_cbranch_scc1 .LBB20_44
; %bb.41:
	s_add_i32 s6, s4, s1
	s_add_u32 s7, s2, s5
	s_addc_u32 s6, s3, s6
	v_add_co_u32 v3, vcc_lo, s7, v0
	v_add_co_ci_u32_e64 v4, null, s6, v1, vcc_lo
	global_load_dword v5, v[3:4], off
	s_waitcnt vmcnt(0)
	v_mad_u64_u32 v[5:6], null, v5, s14, v[2:3]
	global_store_dword v[3:4], v5, off
	s_andn2_b32 vcc_lo, exec_lo, s0
	s_cbranch_vccnz .LBB20_43
.LBB20_42:
	s_add_i32 s4, s4, s1
	s_add_u32 s0, s2, s5
	s_addc_u32 s1, s3, s4
	v_add_co_u32 v0, vcc_lo, s0, v0
	v_add_co_ci_u32_e64 v1, null, s1, v1, vcc_lo
	global_store_dword v[0:1], v2, off
.LBB20_43:
	s_endpgm
.LBB20_44:
	s_branch .LBB20_42
	.section	.rodata,"a",@progbits
	.p2align	6, 0x0
	.amdhsa_kernel _ZN9rocsparseL18bsrxmvn_5x5_kernelILj50EillaaiEEvT2_20rocsparse_direction_NS_24const_host_device_scalarIT0_EES1_PKS1_PKT1_SA_S7_PKT3_PKT4_S5_PT5_21rocsparse_index_base_b
		.amdhsa_group_segment_fixed_size 200
		.amdhsa_private_segment_fixed_size 0
		.amdhsa_kernarg_size 104
		.amdhsa_user_sgpr_count 6
		.amdhsa_user_sgpr_private_segment_buffer 1
		.amdhsa_user_sgpr_dispatch_ptr 0
		.amdhsa_user_sgpr_queue_ptr 0
		.amdhsa_user_sgpr_kernarg_segment_ptr 1
		.amdhsa_user_sgpr_dispatch_id 0
		.amdhsa_user_sgpr_flat_scratch_init 0
		.amdhsa_user_sgpr_private_segment_size 0
		.amdhsa_wavefront_size32 1
		.amdhsa_uses_dynamic_stack 0
		.amdhsa_system_sgpr_private_segment_wavefront_offset 0
		.amdhsa_system_sgpr_workgroup_id_x 1
		.amdhsa_system_sgpr_workgroup_id_y 0
		.amdhsa_system_sgpr_workgroup_id_z 0
		.amdhsa_system_sgpr_workgroup_info 0
		.amdhsa_system_vgpr_workitem_id 0
		.amdhsa_next_free_vgpr 14
		.amdhsa_next_free_sgpr 22
		.amdhsa_reserve_vcc 1
		.amdhsa_reserve_flat_scratch 0
		.amdhsa_float_round_mode_32 0
		.amdhsa_float_round_mode_16_64 0
		.amdhsa_float_denorm_mode_32 3
		.amdhsa_float_denorm_mode_16_64 3
		.amdhsa_dx10_clamp 1
		.amdhsa_ieee_mode 1
		.amdhsa_fp16_overflow 0
		.amdhsa_workgroup_processor_mode 1
		.amdhsa_memory_ordered 1
		.amdhsa_forward_progress 1
		.amdhsa_shared_vgpr_count 0
		.amdhsa_exception_fp_ieee_invalid_op 0
		.amdhsa_exception_fp_denorm_src 0
		.amdhsa_exception_fp_ieee_div_zero 0
		.amdhsa_exception_fp_ieee_overflow 0
		.amdhsa_exception_fp_ieee_underflow 0
		.amdhsa_exception_fp_ieee_inexact 0
		.amdhsa_exception_int_div_zero 0
	.end_amdhsa_kernel
	.section	.text._ZN9rocsparseL18bsrxmvn_5x5_kernelILj50EillaaiEEvT2_20rocsparse_direction_NS_24const_host_device_scalarIT0_EES1_PKS1_PKT1_SA_S7_PKT3_PKT4_S5_PT5_21rocsparse_index_base_b,"axG",@progbits,_ZN9rocsparseL18bsrxmvn_5x5_kernelILj50EillaaiEEvT2_20rocsparse_direction_NS_24const_host_device_scalarIT0_EES1_PKS1_PKT1_SA_S7_PKT3_PKT4_S5_PT5_21rocsparse_index_base_b,comdat
.Lfunc_end20:
	.size	_ZN9rocsparseL18bsrxmvn_5x5_kernelILj50EillaaiEEvT2_20rocsparse_direction_NS_24const_host_device_scalarIT0_EES1_PKS1_PKT1_SA_S7_PKT3_PKT4_S5_PT5_21rocsparse_index_base_b, .Lfunc_end20-_ZN9rocsparseL18bsrxmvn_5x5_kernelILj50EillaaiEEvT2_20rocsparse_direction_NS_24const_host_device_scalarIT0_EES1_PKS1_PKT1_SA_S7_PKT3_PKT4_S5_PT5_21rocsparse_index_base_b
                                        ; -- End function
	.set _ZN9rocsparseL18bsrxmvn_5x5_kernelILj50EillaaiEEvT2_20rocsparse_direction_NS_24const_host_device_scalarIT0_EES1_PKS1_PKT1_SA_S7_PKT3_PKT4_S5_PT5_21rocsparse_index_base_b.num_vgpr, 14
	.set _ZN9rocsparseL18bsrxmvn_5x5_kernelILj50EillaaiEEvT2_20rocsparse_direction_NS_24const_host_device_scalarIT0_EES1_PKS1_PKT1_SA_S7_PKT3_PKT4_S5_PT5_21rocsparse_index_base_b.num_agpr, 0
	.set _ZN9rocsparseL18bsrxmvn_5x5_kernelILj50EillaaiEEvT2_20rocsparse_direction_NS_24const_host_device_scalarIT0_EES1_PKS1_PKT1_SA_S7_PKT3_PKT4_S5_PT5_21rocsparse_index_base_b.numbered_sgpr, 22
	.set _ZN9rocsparseL18bsrxmvn_5x5_kernelILj50EillaaiEEvT2_20rocsparse_direction_NS_24const_host_device_scalarIT0_EES1_PKS1_PKT1_SA_S7_PKT3_PKT4_S5_PT5_21rocsparse_index_base_b.num_named_barrier, 0
	.set _ZN9rocsparseL18bsrxmvn_5x5_kernelILj50EillaaiEEvT2_20rocsparse_direction_NS_24const_host_device_scalarIT0_EES1_PKS1_PKT1_SA_S7_PKT3_PKT4_S5_PT5_21rocsparse_index_base_b.private_seg_size, 0
	.set _ZN9rocsparseL18bsrxmvn_5x5_kernelILj50EillaaiEEvT2_20rocsparse_direction_NS_24const_host_device_scalarIT0_EES1_PKS1_PKT1_SA_S7_PKT3_PKT4_S5_PT5_21rocsparse_index_base_b.uses_vcc, 1
	.set _ZN9rocsparseL18bsrxmvn_5x5_kernelILj50EillaaiEEvT2_20rocsparse_direction_NS_24const_host_device_scalarIT0_EES1_PKS1_PKT1_SA_S7_PKT3_PKT4_S5_PT5_21rocsparse_index_base_b.uses_flat_scratch, 0
	.set _ZN9rocsparseL18bsrxmvn_5x5_kernelILj50EillaaiEEvT2_20rocsparse_direction_NS_24const_host_device_scalarIT0_EES1_PKS1_PKT1_SA_S7_PKT3_PKT4_S5_PT5_21rocsparse_index_base_b.has_dyn_sized_stack, 0
	.set _ZN9rocsparseL18bsrxmvn_5x5_kernelILj50EillaaiEEvT2_20rocsparse_direction_NS_24const_host_device_scalarIT0_EES1_PKS1_PKT1_SA_S7_PKT3_PKT4_S5_PT5_21rocsparse_index_base_b.has_recursion, 0
	.set _ZN9rocsparseL18bsrxmvn_5x5_kernelILj50EillaaiEEvT2_20rocsparse_direction_NS_24const_host_device_scalarIT0_EES1_PKS1_PKT1_SA_S7_PKT3_PKT4_S5_PT5_21rocsparse_index_base_b.has_indirect_call, 0
	.section	.AMDGPU.csdata,"",@progbits
; Kernel info:
; codeLenInByte = 1464
; TotalNumSgprs: 24
; NumVgprs: 14
; ScratchSize: 0
; MemoryBound: 0
; FloatMode: 240
; IeeeMode: 1
; LDSByteSize: 200 bytes/workgroup (compile time only)
; SGPRBlocks: 0
; VGPRBlocks: 1
; NumSGPRsForWavesPerEU: 24
; NumVGPRsForWavesPerEU: 14
; Occupancy: 16
; WaveLimiterHint : 1
; COMPUTE_PGM_RSRC2:SCRATCH_EN: 0
; COMPUTE_PGM_RSRC2:USER_SGPR: 6
; COMPUTE_PGM_RSRC2:TRAP_HANDLER: 0
; COMPUTE_PGM_RSRC2:TGID_X_EN: 1
; COMPUTE_PGM_RSRC2:TGID_Y_EN: 0
; COMPUTE_PGM_RSRC2:TGID_Z_EN: 0
; COMPUTE_PGM_RSRC2:TIDIG_COMP_CNT: 0
	.section	.text._ZN9rocsparseL18bsrxmvn_5x5_kernelILj50EfiiaafEEvT2_20rocsparse_direction_NS_24const_host_device_scalarIT0_EES1_PKS1_PKT1_SA_S7_PKT3_PKT4_S5_PT5_21rocsparse_index_base_b,"axG",@progbits,_ZN9rocsparseL18bsrxmvn_5x5_kernelILj50EfiiaafEEvT2_20rocsparse_direction_NS_24const_host_device_scalarIT0_EES1_PKS1_PKT1_SA_S7_PKT3_PKT4_S5_PT5_21rocsparse_index_base_b,comdat
	.globl	_ZN9rocsparseL18bsrxmvn_5x5_kernelILj50EfiiaafEEvT2_20rocsparse_direction_NS_24const_host_device_scalarIT0_EES1_PKS1_PKT1_SA_S7_PKT3_PKT4_S5_PT5_21rocsparse_index_base_b ; -- Begin function _ZN9rocsparseL18bsrxmvn_5x5_kernelILj50EfiiaafEEvT2_20rocsparse_direction_NS_24const_host_device_scalarIT0_EES1_PKS1_PKT1_SA_S7_PKT3_PKT4_S5_PT5_21rocsparse_index_base_b
	.p2align	8
	.type	_ZN9rocsparseL18bsrxmvn_5x5_kernelILj50EfiiaafEEvT2_20rocsparse_direction_NS_24const_host_device_scalarIT0_EES1_PKS1_PKT1_SA_S7_PKT3_PKT4_S5_PT5_21rocsparse_index_base_b,@function
_ZN9rocsparseL18bsrxmvn_5x5_kernelILj50EfiiaafEEvT2_20rocsparse_direction_NS_24const_host_device_scalarIT0_EES1_PKS1_PKT1_SA_S7_PKT3_PKT4_S5_PT5_21rocsparse_index_base_b: ; @_ZN9rocsparseL18bsrxmvn_5x5_kernelILj50EfiiaafEEvT2_20rocsparse_direction_NS_24const_host_device_scalarIT0_EES1_PKS1_PKT1_SA_S7_PKT3_PKT4_S5_PT5_21rocsparse_index_base_b
; %bb.0:
	s_clause 0x2
	s_load_dwordx2 s[14:15], s[4:5], 0x58
	s_load_dwordx2 s[10:11], s[4:5], 0x8
	;; [unrolled: 1-line block ×3, first 2 shown]
	s_waitcnt lgkmcnt(0)
	s_bitcmp1_b32 s15, 0
	s_cselect_b32 s0, -1, 0
	s_and_b32 vcc_lo, exec_lo, s0
	s_xor_b32 s0, s0, -1
	s_cbranch_vccnz .LBB21_2
; %bb.1:
	s_load_dword s10, s[10:11], 0x0
.LBB21_2:
	s_andn2_b32 vcc_lo, exec_lo, s0
	s_cbranch_vccnz .LBB21_4
; %bb.3:
	s_load_dword s8, s[8:9], 0x0
.LBB21_4:
	s_waitcnt lgkmcnt(0)
	v_cmp_neq_f32_e64 s0, s10, 0
	v_cmp_neq_f32_e64 s1, s8, 1.0
	s_or_b32 s0, s0, s1
	s_andn2_b32 vcc_lo, exec_lo, s0
	s_cbranch_vccnz .LBB21_36
; %bb.5:
	s_clause 0x1
	s_load_dwordx4 s[0:3], s[4:5], 0x18
	s_load_dwordx2 s[12:13], s[4:5], 0x28
	s_waitcnt lgkmcnt(0)
	s_cmp_eq_u64 s[0:1], 0
	s_cbranch_scc1 .LBB21_7
; %bb.6:
	s_ashr_i32 s7, s6, 31
	s_lshl_b64 s[6:7], s[6:7], 2
	s_add_u32 s0, s0, s6
	s_addc_u32 s1, s1, s7
	s_load_dword s0, s[0:1], 0x0
	s_waitcnt lgkmcnt(0)
	s_sub_i32 s6, s0, s14
.LBB21_7:
	s_load_dword s0, s[4:5], 0x4
	v_mul_u32_u24_e32 v1, 0x3334, v0
	v_mov_b32_e32 v4, 0
	v_lshrrev_b32_e32 v1, 16, v1
	v_mul_lo_u16 v2, v1, 5
	v_sub_nc_u16 v5, v0, v2
	s_waitcnt lgkmcnt(0)
	s_cmp_eq_u32 s0, 1
	s_cselect_b32 vcc_lo, -1, 0
	s_cmp_lg_u32 s0, 1
	s_cselect_b32 s9, -1, 0
	s_ashr_i32 s7, s6, 31
	s_lshl_b64 s[0:1], s[6:7], 2
	s_add_u32 s2, s2, s0
	s_addc_u32 s3, s3, s1
	s_add_u32 s7, s2, 4
	s_addc_u32 s11, s3, 0
	;; [unrolled: 2-line block ×3, first 2 shown]
	s_cmp_eq_u64 s[12:13], 0
	s_load_dwordx2 s[12:13], s[4:5], 0x50
	s_cselect_b32 s1, s11, s1
	s_cselect_b32 s0, s7, s0
	s_load_dword s11, s[2:3], 0x0
	s_load_dword s7, s[0:1], 0x0
	s_waitcnt lgkmcnt(0)
	s_cmp_ge_i32 s11, s7
	s_cbranch_scc1 .LBB21_12
; %bb.8:
	v_mul_lo_u16 v2, v1, 52
	s_clause 0x1
	s_load_dwordx4 s[0:3], s[4:5], 0x30
	s_load_dwordx2 s[4:5], s[4:5], 0x40
	v_and_b32_e32 v4, 0xffff, v5
	s_mul_i32 s15, s14, 25
	s_sub_i32 s7, s7, s14
	v_lshrrev_b16 v2, 8, v2
	v_mul_lo_u16 v2, v2, 5
	v_sub_nc_u16 v3, v1, v2
	v_mad_u64_u32 v[1:2], null, s11, 25, v[0:1]
	v_mov_b32_e32 v2, 0xa3e
	s_sub_i32 s11, s11, s14
	v_and_b32_e32 v3, 0xff, v3
	v_mul_u32_u24_sdwa v6, v0, v2 dst_sel:DWORD dst_unused:UNUSED_PAD src0_sel:WORD_0 src1_sel:DWORD
	v_subrev_nc_u32_e32 v7, s15, v1
	v_cndmask_b32_e32 v1, v4, v3, vcc_lo
	v_mov_b32_e32 v4, 0
	s_inst_prefetch 0x1
	s_branch .LBB21_10
	.p2align	6
.LBB21_9:                               ;   in Loop: Header=BB21_10 Depth=1
	s_or_b32 exec_lo, exec_lo, s15
	v_add_nc_u32_e32 v7, 50, v7
	s_add_i32 s11, s11, 2
	s_cmp_ge_i32 s11, s7
	s_cbranch_scc1 .LBB21_12
.LBB21_10:                              ; =>This Inner Loop Header: Depth=1
	v_add_nc_u32_sdwa v2, v6, s11 dst_sel:DWORD dst_unused:UNUSED_PAD src0_sel:WORD_1 src1_sel:DWORD
	s_mov_b32 s15, exec_lo
	v_cmpx_gt_i32_e64 s7, v2
	s_cbranch_execz .LBB21_9
; %bb.11:                               ;   in Loop: Header=BB21_10 Depth=1
	v_ashrrev_i32_e32 v3, 31, v2
	v_lshlrev_b64 v[2:3], 2, v[2:3]
	s_waitcnt lgkmcnt(0)
	v_add_co_u32 v2, vcc_lo, s0, v2
	v_add_co_ci_u32_e64 v3, null, s1, v3, vcc_lo
	global_load_dword v2, v[2:3], off
	s_waitcnt vmcnt(0)
	v_subrev_nc_u32_e32 v2, s14, v2
	v_mad_u64_u32 v[2:3], null, v2, 5, v[1:2]
	v_ashrrev_i32_e32 v3, 31, v2
	v_add_co_u32 v2, vcc_lo, s4, v2
	v_add_co_ci_u32_e64 v3, null, s5, v3, vcc_lo
	global_load_sbyte v8, v7, s[2:3]
	global_load_sbyte v2, v[2:3], off
	s_waitcnt vmcnt(1)
	v_cvt_f32_i32_e32 v3, v8
	s_waitcnt vmcnt(0)
	v_cvt_f32_i32_e32 v2, v2
	v_fmac_f32_e32 v4, v3, v2
	s_branch .LBB21_9
.LBB21_12:
	s_inst_prefetch 0x2
	v_lshlrev_b32_e32 v1, 2, v0
	s_and_b32 vcc_lo, exec_lo, s9
	ds_write_b32 v1, v4
	s_waitcnt lgkmcnt(0)
	buffer_gl0_inv
	s_cbranch_vccz .LBB21_22
; %bb.13:
	s_mov_b32 s0, exec_lo
	v_cmpx_gt_u32_e32 25, v0
	s_cbranch_execz .LBB21_15
; %bb.14:
	ds_read2_b32 v[2:3], v1 offset1:25
	s_waitcnt lgkmcnt(0)
	v_add_f32_e32 v2, v3, v2
	ds_write_b32 v1, v2
.LBB21_15:
	s_or_b32 exec_lo, exec_lo, s0
	s_mov_b32 s0, exec_lo
	s_waitcnt lgkmcnt(0)
	buffer_gl0_inv
	v_cmpx_eq_u16_e32 0, v5
	s_cbranch_execz .LBB21_17
; %bb.16:
	ds_read2_b32 v[2:3], v1 offset1:4
	s_waitcnt lgkmcnt(0)
	v_add_f32_e32 v2, v3, v2
	ds_write_b32 v1, v2
.LBB21_17:
	s_or_b32 exec_lo, exec_lo, s0
	s_mov_b32 s0, exec_lo
	s_waitcnt lgkmcnt(0)
	buffer_gl0_inv
	v_cmpx_gt_u16_e32 2, v5
	s_cbranch_execz .LBB21_19
; %bb.18:
	ds_read2_b32 v[2:3], v1 offset1:2
	s_waitcnt lgkmcnt(0)
	v_add_f32_e32 v2, v3, v2
	ds_write_b32 v1, v2
.LBB21_19:
	s_or_b32 exec_lo, exec_lo, s0
	v_mov_b32_e32 v2, v4
	s_mov_b32 s0, exec_lo
	s_waitcnt lgkmcnt(0)
	buffer_gl0_inv
	v_cmpx_gt_u32_e32 5, v0
	s_cbranch_execz .LBB21_21
; %bb.20:
	v_lshl_add_u32 v2, v0, 4, v1
	ds_read2_b32 v[2:3], v2 offset1:1
	s_waitcnt lgkmcnt(0)
	v_add_f32_e32 v2, v2, v3
.LBB21_21:
	s_or_b32 exec_lo, exec_lo, s0
	s_branch .LBB21_32
.LBB21_22:
                                        ; implicit-def: $vgpr2
	s_cbranch_execz .LBB21_32
; %bb.23:
	v_cmp_gt_u32_e32 vcc_lo, 10, v0
	s_and_saveexec_b32 s0, vcc_lo
	s_cbranch_execz .LBB21_25
; %bb.24:
	ds_read2_b32 v[2:3], v1 offset1:40
	s_waitcnt lgkmcnt(0)
	v_add_f32_e32 v2, v3, v2
	ds_write_b32 v1, v2
.LBB21_25:
	s_or_b32 exec_lo, exec_lo, s0
	s_mov_b32 s1, exec_lo
	s_waitcnt lgkmcnt(0)
	buffer_gl0_inv
	v_cmpx_gt_u32_e32 20, v0
	s_cbranch_execz .LBB21_27
; %bb.26:
	ds_read2_b32 v[2:3], v1 offset1:20
	s_waitcnt lgkmcnt(0)
	v_add_f32_e32 v2, v3, v2
	ds_write_b32 v1, v2
.LBB21_27:
	s_or_b32 exec_lo, exec_lo, s1
	s_waitcnt lgkmcnt(0)
	buffer_gl0_inv
	s_and_saveexec_b32 s0, vcc_lo
	s_cbranch_execz .LBB21_29
; %bb.28:
	ds_read2_b32 v[2:3], v1 offset1:10
	s_waitcnt lgkmcnt(0)
	v_add_f32_e32 v2, v3, v2
	ds_write_b32 v1, v2
.LBB21_29:
	s_or_b32 exec_lo, exec_lo, s0
	s_mov_b32 s0, exec_lo
	s_waitcnt lgkmcnt(0)
	buffer_gl0_inv
	v_cmpx_gt_u32_e32 5, v0
	s_cbranch_execz .LBB21_31
; %bb.30:
	ds_read2_b32 v[1:2], v1 offset1:5
	s_waitcnt lgkmcnt(0)
	v_add_f32_e32 v4, v1, v2
.LBB21_31:
	s_or_b32 exec_lo, exec_lo, s0
	v_mov_b32_e32 v2, v4
.LBB21_32:
	s_mov_b32 s0, exec_lo
	v_cmpx_gt_u32_e32 5, v0
	s_cbranch_execz .LBB21_36
; %bb.33:
	v_cmp_eq_f32_e64 s0, s8, 0
	v_mul_f32_e32 v1, s10, v2
	s_and_b32 vcc_lo, exec_lo, s0
	s_mov_b32 s0, 0
	s_cbranch_vccz .LBB21_37
; %bb.34:
	v_mad_u64_u32 v[2:3], null, s6, 5, v[0:1]
	v_mov_b32_e32 v3, 0
	v_lshlrev_b64 v[2:3], 2, v[2:3]
	v_add_co_u32 v2, vcc_lo, s12, v2
	v_add_co_ci_u32_e64 v3, null, s13, v3, vcc_lo
	global_store_dword v[2:3], v1, off
	s_andn2_b32 vcc_lo, exec_lo, s0
	s_cbranch_vccnz .LBB21_36
.LBB21_35:
	v_mad_u64_u32 v[2:3], null, s6, 5, v[0:1]
	v_mov_b32_e32 v3, 0
	v_lshlrev_b64 v[2:3], 2, v[2:3]
	v_add_co_u32 v2, vcc_lo, s12, v2
	v_add_co_ci_u32_e64 v3, null, s13, v3, vcc_lo
	global_load_dword v0, v[2:3], off
	s_waitcnt vmcnt(0)
	v_fmac_f32_e32 v1, s8, v0
	global_store_dword v[2:3], v1, off
.LBB21_36:
	s_endpgm
.LBB21_37:
	s_branch .LBB21_35
	.section	.rodata,"a",@progbits
	.p2align	6, 0x0
	.amdhsa_kernel _ZN9rocsparseL18bsrxmvn_5x5_kernelILj50EfiiaafEEvT2_20rocsparse_direction_NS_24const_host_device_scalarIT0_EES1_PKS1_PKT1_SA_S7_PKT3_PKT4_S5_PT5_21rocsparse_index_base_b
		.amdhsa_group_segment_fixed_size 200
		.amdhsa_private_segment_fixed_size 0
		.amdhsa_kernarg_size 96
		.amdhsa_user_sgpr_count 6
		.amdhsa_user_sgpr_private_segment_buffer 1
		.amdhsa_user_sgpr_dispatch_ptr 0
		.amdhsa_user_sgpr_queue_ptr 0
		.amdhsa_user_sgpr_kernarg_segment_ptr 1
		.amdhsa_user_sgpr_dispatch_id 0
		.amdhsa_user_sgpr_flat_scratch_init 0
		.amdhsa_user_sgpr_private_segment_size 0
		.amdhsa_wavefront_size32 1
		.amdhsa_uses_dynamic_stack 0
		.amdhsa_system_sgpr_private_segment_wavefront_offset 0
		.amdhsa_system_sgpr_workgroup_id_x 1
		.amdhsa_system_sgpr_workgroup_id_y 0
		.amdhsa_system_sgpr_workgroup_id_z 0
		.amdhsa_system_sgpr_workgroup_info 0
		.amdhsa_system_vgpr_workitem_id 0
		.amdhsa_next_free_vgpr 9
		.amdhsa_next_free_sgpr 16
		.amdhsa_reserve_vcc 1
		.amdhsa_reserve_flat_scratch 0
		.amdhsa_float_round_mode_32 0
		.amdhsa_float_round_mode_16_64 0
		.amdhsa_float_denorm_mode_32 3
		.amdhsa_float_denorm_mode_16_64 3
		.amdhsa_dx10_clamp 1
		.amdhsa_ieee_mode 1
		.amdhsa_fp16_overflow 0
		.amdhsa_workgroup_processor_mode 1
		.amdhsa_memory_ordered 1
		.amdhsa_forward_progress 1
		.amdhsa_shared_vgpr_count 0
		.amdhsa_exception_fp_ieee_invalid_op 0
		.amdhsa_exception_fp_denorm_src 0
		.amdhsa_exception_fp_ieee_div_zero 0
		.amdhsa_exception_fp_ieee_overflow 0
		.amdhsa_exception_fp_ieee_underflow 0
		.amdhsa_exception_fp_ieee_inexact 0
		.amdhsa_exception_int_div_zero 0
	.end_amdhsa_kernel
	.section	.text._ZN9rocsparseL18bsrxmvn_5x5_kernelILj50EfiiaafEEvT2_20rocsparse_direction_NS_24const_host_device_scalarIT0_EES1_PKS1_PKT1_SA_S7_PKT3_PKT4_S5_PT5_21rocsparse_index_base_b,"axG",@progbits,_ZN9rocsparseL18bsrxmvn_5x5_kernelILj50EfiiaafEEvT2_20rocsparse_direction_NS_24const_host_device_scalarIT0_EES1_PKS1_PKT1_SA_S7_PKT3_PKT4_S5_PT5_21rocsparse_index_base_b,comdat
.Lfunc_end21:
	.size	_ZN9rocsparseL18bsrxmvn_5x5_kernelILj50EfiiaafEEvT2_20rocsparse_direction_NS_24const_host_device_scalarIT0_EES1_PKS1_PKT1_SA_S7_PKT3_PKT4_S5_PT5_21rocsparse_index_base_b, .Lfunc_end21-_ZN9rocsparseL18bsrxmvn_5x5_kernelILj50EfiiaafEEvT2_20rocsparse_direction_NS_24const_host_device_scalarIT0_EES1_PKS1_PKT1_SA_S7_PKT3_PKT4_S5_PT5_21rocsparse_index_base_b
                                        ; -- End function
	.set _ZN9rocsparseL18bsrxmvn_5x5_kernelILj50EfiiaafEEvT2_20rocsparse_direction_NS_24const_host_device_scalarIT0_EES1_PKS1_PKT1_SA_S7_PKT3_PKT4_S5_PT5_21rocsparse_index_base_b.num_vgpr, 9
	.set _ZN9rocsparseL18bsrxmvn_5x5_kernelILj50EfiiaafEEvT2_20rocsparse_direction_NS_24const_host_device_scalarIT0_EES1_PKS1_PKT1_SA_S7_PKT3_PKT4_S5_PT5_21rocsparse_index_base_b.num_agpr, 0
	.set _ZN9rocsparseL18bsrxmvn_5x5_kernelILj50EfiiaafEEvT2_20rocsparse_direction_NS_24const_host_device_scalarIT0_EES1_PKS1_PKT1_SA_S7_PKT3_PKT4_S5_PT5_21rocsparse_index_base_b.numbered_sgpr, 16
	.set _ZN9rocsparseL18bsrxmvn_5x5_kernelILj50EfiiaafEEvT2_20rocsparse_direction_NS_24const_host_device_scalarIT0_EES1_PKS1_PKT1_SA_S7_PKT3_PKT4_S5_PT5_21rocsparse_index_base_b.num_named_barrier, 0
	.set _ZN9rocsparseL18bsrxmvn_5x5_kernelILj50EfiiaafEEvT2_20rocsparse_direction_NS_24const_host_device_scalarIT0_EES1_PKS1_PKT1_SA_S7_PKT3_PKT4_S5_PT5_21rocsparse_index_base_b.private_seg_size, 0
	.set _ZN9rocsparseL18bsrxmvn_5x5_kernelILj50EfiiaafEEvT2_20rocsparse_direction_NS_24const_host_device_scalarIT0_EES1_PKS1_PKT1_SA_S7_PKT3_PKT4_S5_PT5_21rocsparse_index_base_b.uses_vcc, 1
	.set _ZN9rocsparseL18bsrxmvn_5x5_kernelILj50EfiiaafEEvT2_20rocsparse_direction_NS_24const_host_device_scalarIT0_EES1_PKS1_PKT1_SA_S7_PKT3_PKT4_S5_PT5_21rocsparse_index_base_b.uses_flat_scratch, 0
	.set _ZN9rocsparseL18bsrxmvn_5x5_kernelILj50EfiiaafEEvT2_20rocsparse_direction_NS_24const_host_device_scalarIT0_EES1_PKS1_PKT1_SA_S7_PKT3_PKT4_S5_PT5_21rocsparse_index_base_b.has_dyn_sized_stack, 0
	.set _ZN9rocsparseL18bsrxmvn_5x5_kernelILj50EfiiaafEEvT2_20rocsparse_direction_NS_24const_host_device_scalarIT0_EES1_PKS1_PKT1_SA_S7_PKT3_PKT4_S5_PT5_21rocsparse_index_base_b.has_recursion, 0
	.set _ZN9rocsparseL18bsrxmvn_5x5_kernelILj50EfiiaafEEvT2_20rocsparse_direction_NS_24const_host_device_scalarIT0_EES1_PKS1_PKT1_SA_S7_PKT3_PKT4_S5_PT5_21rocsparse_index_base_b.has_indirect_call, 0
	.section	.AMDGPU.csdata,"",@progbits
; Kernel info:
; codeLenInByte = 1196
; TotalNumSgprs: 18
; NumVgprs: 9
; ScratchSize: 0
; MemoryBound: 0
; FloatMode: 240
; IeeeMode: 1
; LDSByteSize: 200 bytes/workgroup (compile time only)
; SGPRBlocks: 0
; VGPRBlocks: 1
; NumSGPRsForWavesPerEU: 18
; NumVGPRsForWavesPerEU: 9
; Occupancy: 16
; WaveLimiterHint : 1
; COMPUTE_PGM_RSRC2:SCRATCH_EN: 0
; COMPUTE_PGM_RSRC2:USER_SGPR: 6
; COMPUTE_PGM_RSRC2:TRAP_HANDLER: 0
; COMPUTE_PGM_RSRC2:TGID_X_EN: 1
; COMPUTE_PGM_RSRC2:TGID_Y_EN: 0
; COMPUTE_PGM_RSRC2:TGID_Z_EN: 0
; COMPUTE_PGM_RSRC2:TIDIG_COMP_CNT: 0
	.section	.text._ZN9rocsparseL18bsrxmvn_5x5_kernelILj50EfliaafEEvT2_20rocsparse_direction_NS_24const_host_device_scalarIT0_EES1_PKS1_PKT1_SA_S7_PKT3_PKT4_S5_PT5_21rocsparse_index_base_b,"axG",@progbits,_ZN9rocsparseL18bsrxmvn_5x5_kernelILj50EfliaafEEvT2_20rocsparse_direction_NS_24const_host_device_scalarIT0_EES1_PKS1_PKT1_SA_S7_PKT3_PKT4_S5_PT5_21rocsparse_index_base_b,comdat
	.globl	_ZN9rocsparseL18bsrxmvn_5x5_kernelILj50EfliaafEEvT2_20rocsparse_direction_NS_24const_host_device_scalarIT0_EES1_PKS1_PKT1_SA_S7_PKT3_PKT4_S5_PT5_21rocsparse_index_base_b ; -- Begin function _ZN9rocsparseL18bsrxmvn_5x5_kernelILj50EfliaafEEvT2_20rocsparse_direction_NS_24const_host_device_scalarIT0_EES1_PKS1_PKT1_SA_S7_PKT3_PKT4_S5_PT5_21rocsparse_index_base_b
	.p2align	8
	.type	_ZN9rocsparseL18bsrxmvn_5x5_kernelILj50EfliaafEEvT2_20rocsparse_direction_NS_24const_host_device_scalarIT0_EES1_PKS1_PKT1_SA_S7_PKT3_PKT4_S5_PT5_21rocsparse_index_base_b,@function
_ZN9rocsparseL18bsrxmvn_5x5_kernelILj50EfliaafEEvT2_20rocsparse_direction_NS_24const_host_device_scalarIT0_EES1_PKS1_PKT1_SA_S7_PKT3_PKT4_S5_PT5_21rocsparse_index_base_b: ; @_ZN9rocsparseL18bsrxmvn_5x5_kernelILj50EfliaafEEvT2_20rocsparse_direction_NS_24const_host_device_scalarIT0_EES1_PKS1_PKT1_SA_S7_PKT3_PKT4_S5_PT5_21rocsparse_index_base_b
; %bb.0:
	s_clause 0x2
	s_load_dwordx2 s[12:13], s[4:5], 0x58
	s_load_dwordx2 s[10:11], s[4:5], 0x8
	;; [unrolled: 1-line block ×3, first 2 shown]
	s_waitcnt lgkmcnt(0)
	s_bitcmp1_b32 s13, 0
	s_cselect_b32 s0, -1, 0
	s_and_b32 vcc_lo, exec_lo, s0
	s_xor_b32 s0, s0, -1
	s_cbranch_vccnz .LBB22_2
; %bb.1:
	s_load_dword s10, s[10:11], 0x0
.LBB22_2:
	s_andn2_b32 vcc_lo, exec_lo, s0
	s_cbranch_vccnz .LBB22_4
; %bb.3:
	s_load_dword s8, s[8:9], 0x0
.LBB22_4:
	s_waitcnt lgkmcnt(0)
	v_cmp_neq_f32_e64 s0, s10, 0
	v_cmp_neq_f32_e64 s1, s8, 1.0
	s_or_b32 s0, s0, s1
	s_andn2_b32 vcc_lo, exec_lo, s0
	s_cbranch_vccnz .LBB22_36
; %bb.5:
	s_clause 0x1
	s_load_dwordx4 s[0:3], s[4:5], 0x18
	s_load_dwordx2 s[14:15], s[4:5], 0x28
	s_waitcnt lgkmcnt(0)
	s_cmp_eq_u64 s[0:1], 0
	s_cbranch_scc1 .LBB22_7
; %bb.6:
	s_ashr_i32 s7, s6, 31
	s_lshl_b64 s[6:7], s[6:7], 2
	s_add_u32 s0, s0, s6
	s_addc_u32 s1, s1, s7
	s_load_dword s0, s[0:1], 0x0
	s_waitcnt lgkmcnt(0)
	s_sub_i32 s6, s0, s12
.LBB22_7:
	s_load_dword s1, s[4:5], 0x4
	v_mul_u32_u24_e32 v1, 0x3334, v0
	v_lshrrev_b32_e32 v2, 16, v1
	v_mul_lo_u16 v1, v2, 5
	v_sub_nc_u16 v7, v0, v1
	v_mov_b32_e32 v1, 0
	s_waitcnt lgkmcnt(0)
	s_cmp_eq_u32 s1, 1
	s_cselect_b32 s0, -1, 0
	s_cmp_lg_u32 s1, 1
	s_cselect_b32 s9, -1, 0
	s_ashr_i32 s7, s6, 31
	s_lshl_b64 s[16:17], s[6:7], 3
	s_add_u32 s2, s2, s16
	s_addc_u32 s3, s3, s17
	s_add_u32 s1, s2, 8
	s_addc_u32 s7, s3, 0
	;; [unrolled: 2-line block ×3, first 2 shown]
	s_cmp_eq_u64 s[14:15], 0
	s_cselect_b32 s15, s7, s13
	s_cselect_b32 s14, s1, s11
	s_load_dwordx2 s[16:17], s[2:3], 0x0
	s_load_dwordx2 s[14:15], s[14:15], 0x0
	;; [unrolled: 1-line block ×3, first 2 shown]
	s_waitcnt lgkmcnt(0)
	v_cmp_ge_i64_e64 s1, s[16:17], s[14:15]
	s_and_b32 vcc_lo, exec_lo, s1
	s_cbranch_vccnz .LBB22_12
; %bb.8:
	v_mul_lo_u16 v1, v2, 52
	v_mov_b32_e32 v5, 0xa3e
	s_clause 0x1
	s_load_dwordx4 s[20:23], s[4:5], 0x30
	s_load_dwordx2 s[4:5], s[4:5], 0x40
	v_and_b32_e32 v9, 0xffff, v7
	s_mul_i32 s7, s12, 25
	v_lshrrev_b16 v3, 8, v1
	v_mov_b32_e32 v1, 0
	v_mul_u32_u24_sdwa v5, v0, v5 dst_sel:DWORD dst_unused:UNUSED_PAD src0_sel:WORD_0 src1_sel:DWORD
	s_mul_hi_u32 s1, s12, 25
	s_sub_u32 s14, s14, s12
	v_mul_lo_u16 v6, v3, 5
	v_mad_u64_u32 v[3:4], null, s16, 25, v[0:1]
	v_lshrrev_b32_e32 v8, 16, v5
	s_subb_u32 s15, s15, 0
	v_sub_nc_u16 v6, v2, v6
	v_add_co_u32 v10, s11, s16, v8
	v_mov_b32_e32 v2, v4
	v_and_b32_e32 v6, 0xff, v6
	v_add_co_ci_u32_e64 v11, null, s17, 0, s11
	v_mad_u64_u32 v[4:5], null, s17, 25, v[2:3]
	v_sub_co_u32 v5, vcc_lo, v10, s12
	v_cndmask_b32_e64 v2, v9, v6, s0
	v_subrev_co_ci_u32_e64 v6, null, 0, v11, vcc_lo
	v_sub_co_u32 v3, vcc_lo, v3, s7
	v_subrev_co_ci_u32_e64 v4, null, s1, v4, vcc_lo
	v_lshlrev_b64 v[5:6], 2, v[5:6]
	s_waitcnt lgkmcnt(0)
	v_add_co_u32 v3, vcc_lo, s22, v3
	v_add_co_ci_u32_e64 v4, null, s23, v4, vcc_lo
	s_sub_u32 s0, s16, s12
	v_add_co_u32 v5, vcc_lo, s20, v5
	v_add_co_ci_u32_e64 v6, null, s21, v6, vcc_lo
	s_subb_u32 s1, s17, 0
	s_inst_prefetch 0x1
	s_branch .LBB22_10
	.p2align	6
.LBB22_9:                               ;   in Loop: Header=BB22_10 Depth=1
	s_or_b32 exec_lo, exec_lo, s7
	s_add_u32 s0, s0, 2
	s_addc_u32 s1, s1, 0
	v_add_co_u32 v3, vcc_lo, v3, 50
	v_cmp_ge_i64_e64 s7, s[0:1], s[14:15]
	v_add_co_ci_u32_e64 v4, null, 0, v4, vcc_lo
	v_add_co_u32 v5, vcc_lo, v5, 8
	v_add_co_ci_u32_e64 v6, null, 0, v6, vcc_lo
	s_and_b32 vcc_lo, exec_lo, s7
	s_cbranch_vccnz .LBB22_12
.LBB22_10:                              ; =>This Inner Loop Header: Depth=1
	v_add_co_u32 v9, s7, v8, s0
	v_add_co_ci_u32_e64 v10, null, 0, s1, s7
	s_mov_b32 s7, exec_lo
	v_cmpx_gt_i64_e64 s[14:15], v[9:10]
	s_cbranch_execz .LBB22_9
; %bb.11:                               ;   in Loop: Header=BB22_10 Depth=1
	global_load_dword v9, v[5:6], off
	s_waitcnt vmcnt(0)
	v_subrev_nc_u32_e32 v9, s12, v9
	v_mad_u64_u32 v[9:10], null, v9, 5, v[2:3]
	v_ashrrev_i32_e32 v10, 31, v9
	v_add_co_u32 v9, vcc_lo, s4, v9
	v_add_co_ci_u32_e64 v10, null, s5, v10, vcc_lo
	global_load_sbyte v11, v[3:4], off
	global_load_sbyte v9, v[9:10], off
	s_waitcnt vmcnt(1)
	v_cvt_f32_i32_e32 v10, v11
	s_waitcnt vmcnt(0)
	v_cvt_f32_i32_e32 v9, v9
	v_fmac_f32_e32 v1, v10, v9
	s_branch .LBB22_9
.LBB22_12:
	s_inst_prefetch 0x2
	v_lshlrev_b32_e32 v2, 2, v0
	s_and_b32 vcc_lo, exec_lo, s9
	ds_write_b32 v2, v1
	s_waitcnt lgkmcnt(0)
	buffer_gl0_inv
	s_cbranch_vccz .LBB22_22
; %bb.13:
	s_mov_b32 s0, exec_lo
	v_cmpx_gt_u32_e32 25, v0
	s_cbranch_execz .LBB22_15
; %bb.14:
	ds_read2_b32 v[3:4], v2 offset1:25
	s_waitcnt lgkmcnt(0)
	v_add_f32_e32 v3, v4, v3
	ds_write_b32 v2, v3
.LBB22_15:
	s_or_b32 exec_lo, exec_lo, s0
	s_mov_b32 s0, exec_lo
	s_waitcnt lgkmcnt(0)
	buffer_gl0_inv
	v_cmpx_eq_u16_e32 0, v7
	s_cbranch_execz .LBB22_17
; %bb.16:
	ds_read2_b32 v[3:4], v2 offset1:4
	s_waitcnt lgkmcnt(0)
	v_add_f32_e32 v3, v4, v3
	ds_write_b32 v2, v3
.LBB22_17:
	s_or_b32 exec_lo, exec_lo, s0
	s_mov_b32 s0, exec_lo
	s_waitcnt lgkmcnt(0)
	buffer_gl0_inv
	v_cmpx_gt_u16_e32 2, v7
	s_cbranch_execz .LBB22_19
; %bb.18:
	ds_read2_b32 v[3:4], v2 offset1:2
	s_waitcnt lgkmcnt(0)
	v_add_f32_e32 v3, v4, v3
	ds_write_b32 v2, v3
.LBB22_19:
	s_or_b32 exec_lo, exec_lo, s0
	v_mov_b32_e32 v3, v1
	s_mov_b32 s0, exec_lo
	s_waitcnt lgkmcnt(0)
	buffer_gl0_inv
	v_cmpx_gt_u32_e32 5, v0
	s_cbranch_execz .LBB22_21
; %bb.20:
	v_lshl_add_u32 v3, v0, 4, v2
	ds_read2_b32 v[3:4], v3 offset1:1
	s_waitcnt lgkmcnt(0)
	v_add_f32_e32 v3, v3, v4
.LBB22_21:
	s_or_b32 exec_lo, exec_lo, s0
	s_branch .LBB22_32
.LBB22_22:
                                        ; implicit-def: $vgpr3
	s_cbranch_execz .LBB22_32
; %bb.23:
	v_cmp_gt_u32_e32 vcc_lo, 10, v0
	s_and_saveexec_b32 s0, vcc_lo
	s_cbranch_execz .LBB22_25
; %bb.24:
	ds_read2_b32 v[3:4], v2 offset1:40
	s_waitcnt lgkmcnt(0)
	v_add_f32_e32 v3, v4, v3
	ds_write_b32 v2, v3
.LBB22_25:
	s_or_b32 exec_lo, exec_lo, s0
	s_mov_b32 s1, exec_lo
	s_waitcnt lgkmcnt(0)
	buffer_gl0_inv
	v_cmpx_gt_u32_e32 20, v0
	s_cbranch_execz .LBB22_27
; %bb.26:
	ds_read2_b32 v[3:4], v2 offset1:20
	s_waitcnt lgkmcnt(0)
	v_add_f32_e32 v3, v4, v3
	ds_write_b32 v2, v3
.LBB22_27:
	s_or_b32 exec_lo, exec_lo, s1
	s_waitcnt lgkmcnt(0)
	buffer_gl0_inv
	s_and_saveexec_b32 s0, vcc_lo
	s_cbranch_execz .LBB22_29
; %bb.28:
	ds_read2_b32 v[3:4], v2 offset1:10
	s_waitcnt lgkmcnt(0)
	v_add_f32_e32 v3, v4, v3
	ds_write_b32 v2, v3
.LBB22_29:
	s_or_b32 exec_lo, exec_lo, s0
	s_mov_b32 s0, exec_lo
	s_waitcnt lgkmcnt(0)
	buffer_gl0_inv
	v_cmpx_gt_u32_e32 5, v0
	s_cbranch_execz .LBB22_31
; %bb.30:
	ds_read2_b32 v[1:2], v2 offset1:5
	s_waitcnt lgkmcnt(0)
	v_add_f32_e32 v1, v1, v2
.LBB22_31:
	s_or_b32 exec_lo, exec_lo, s0
	v_mov_b32_e32 v3, v1
.LBB22_32:
	s_mov_b32 s0, exec_lo
	v_cmpx_gt_u32_e32 5, v0
	s_cbranch_execz .LBB22_36
; %bb.33:
	v_cmp_eq_f32_e64 s0, s8, 0
	v_mul_f32_e32 v1, s10, v3
	s_and_b32 vcc_lo, exec_lo, s0
	s_mov_b32 s0, 0
	s_cbranch_vccz .LBB22_37
; %bb.34:
	v_mad_u64_u32 v[2:3], null, s6, 5, v[0:1]
	v_mov_b32_e32 v3, 0
	v_lshlrev_b64 v[2:3], 2, v[2:3]
	v_add_co_u32 v2, vcc_lo, s2, v2
	v_add_co_ci_u32_e64 v3, null, s3, v3, vcc_lo
	global_store_dword v[2:3], v1, off
	s_andn2_b32 vcc_lo, exec_lo, s0
	s_cbranch_vccnz .LBB22_36
.LBB22_35:
	v_mad_u64_u32 v[2:3], null, s6, 5, v[0:1]
	v_mov_b32_e32 v3, 0
	v_lshlrev_b64 v[2:3], 2, v[2:3]
	v_add_co_u32 v2, vcc_lo, s2, v2
	v_add_co_ci_u32_e64 v3, null, s3, v3, vcc_lo
	global_load_dword v0, v[2:3], off
	s_waitcnt vmcnt(0)
	v_fmac_f32_e32 v1, s8, v0
	global_store_dword v[2:3], v1, off
.LBB22_36:
	s_endpgm
.LBB22_37:
	s_branch .LBB22_35
	.section	.rodata,"a",@progbits
	.p2align	6, 0x0
	.amdhsa_kernel _ZN9rocsparseL18bsrxmvn_5x5_kernelILj50EfliaafEEvT2_20rocsparse_direction_NS_24const_host_device_scalarIT0_EES1_PKS1_PKT1_SA_S7_PKT3_PKT4_S5_PT5_21rocsparse_index_base_b
		.amdhsa_group_segment_fixed_size 200
		.amdhsa_private_segment_fixed_size 0
		.amdhsa_kernarg_size 96
		.amdhsa_user_sgpr_count 6
		.amdhsa_user_sgpr_private_segment_buffer 1
		.amdhsa_user_sgpr_dispatch_ptr 0
		.amdhsa_user_sgpr_queue_ptr 0
		.amdhsa_user_sgpr_kernarg_segment_ptr 1
		.amdhsa_user_sgpr_dispatch_id 0
		.amdhsa_user_sgpr_flat_scratch_init 0
		.amdhsa_user_sgpr_private_segment_size 0
		.amdhsa_wavefront_size32 1
		.amdhsa_uses_dynamic_stack 0
		.amdhsa_system_sgpr_private_segment_wavefront_offset 0
		.amdhsa_system_sgpr_workgroup_id_x 1
		.amdhsa_system_sgpr_workgroup_id_y 0
		.amdhsa_system_sgpr_workgroup_id_z 0
		.amdhsa_system_sgpr_workgroup_info 0
		.amdhsa_system_vgpr_workitem_id 0
		.amdhsa_next_free_vgpr 12
		.amdhsa_next_free_sgpr 24
		.amdhsa_reserve_vcc 1
		.amdhsa_reserve_flat_scratch 0
		.amdhsa_float_round_mode_32 0
		.amdhsa_float_round_mode_16_64 0
		.amdhsa_float_denorm_mode_32 3
		.amdhsa_float_denorm_mode_16_64 3
		.amdhsa_dx10_clamp 1
		.amdhsa_ieee_mode 1
		.amdhsa_fp16_overflow 0
		.amdhsa_workgroup_processor_mode 1
		.amdhsa_memory_ordered 1
		.amdhsa_forward_progress 1
		.amdhsa_shared_vgpr_count 0
		.amdhsa_exception_fp_ieee_invalid_op 0
		.amdhsa_exception_fp_denorm_src 0
		.amdhsa_exception_fp_ieee_div_zero 0
		.amdhsa_exception_fp_ieee_overflow 0
		.amdhsa_exception_fp_ieee_underflow 0
		.amdhsa_exception_fp_ieee_inexact 0
		.amdhsa_exception_int_div_zero 0
	.end_amdhsa_kernel
	.section	.text._ZN9rocsparseL18bsrxmvn_5x5_kernelILj50EfliaafEEvT2_20rocsparse_direction_NS_24const_host_device_scalarIT0_EES1_PKS1_PKT1_SA_S7_PKT3_PKT4_S5_PT5_21rocsparse_index_base_b,"axG",@progbits,_ZN9rocsparseL18bsrxmvn_5x5_kernelILj50EfliaafEEvT2_20rocsparse_direction_NS_24const_host_device_scalarIT0_EES1_PKS1_PKT1_SA_S7_PKT3_PKT4_S5_PT5_21rocsparse_index_base_b,comdat
.Lfunc_end22:
	.size	_ZN9rocsparseL18bsrxmvn_5x5_kernelILj50EfliaafEEvT2_20rocsparse_direction_NS_24const_host_device_scalarIT0_EES1_PKS1_PKT1_SA_S7_PKT3_PKT4_S5_PT5_21rocsparse_index_base_b, .Lfunc_end22-_ZN9rocsparseL18bsrxmvn_5x5_kernelILj50EfliaafEEvT2_20rocsparse_direction_NS_24const_host_device_scalarIT0_EES1_PKS1_PKT1_SA_S7_PKT3_PKT4_S5_PT5_21rocsparse_index_base_b
                                        ; -- End function
	.set _ZN9rocsparseL18bsrxmvn_5x5_kernelILj50EfliaafEEvT2_20rocsparse_direction_NS_24const_host_device_scalarIT0_EES1_PKS1_PKT1_SA_S7_PKT3_PKT4_S5_PT5_21rocsparse_index_base_b.num_vgpr, 12
	.set _ZN9rocsparseL18bsrxmvn_5x5_kernelILj50EfliaafEEvT2_20rocsparse_direction_NS_24const_host_device_scalarIT0_EES1_PKS1_PKT1_SA_S7_PKT3_PKT4_S5_PT5_21rocsparse_index_base_b.num_agpr, 0
	.set _ZN9rocsparseL18bsrxmvn_5x5_kernelILj50EfliaafEEvT2_20rocsparse_direction_NS_24const_host_device_scalarIT0_EES1_PKS1_PKT1_SA_S7_PKT3_PKT4_S5_PT5_21rocsparse_index_base_b.numbered_sgpr, 24
	.set _ZN9rocsparseL18bsrxmvn_5x5_kernelILj50EfliaafEEvT2_20rocsparse_direction_NS_24const_host_device_scalarIT0_EES1_PKS1_PKT1_SA_S7_PKT3_PKT4_S5_PT5_21rocsparse_index_base_b.num_named_barrier, 0
	.set _ZN9rocsparseL18bsrxmvn_5x5_kernelILj50EfliaafEEvT2_20rocsparse_direction_NS_24const_host_device_scalarIT0_EES1_PKS1_PKT1_SA_S7_PKT3_PKT4_S5_PT5_21rocsparse_index_base_b.private_seg_size, 0
	.set _ZN9rocsparseL18bsrxmvn_5x5_kernelILj50EfliaafEEvT2_20rocsparse_direction_NS_24const_host_device_scalarIT0_EES1_PKS1_PKT1_SA_S7_PKT3_PKT4_S5_PT5_21rocsparse_index_base_b.uses_vcc, 1
	.set _ZN9rocsparseL18bsrxmvn_5x5_kernelILj50EfliaafEEvT2_20rocsparse_direction_NS_24const_host_device_scalarIT0_EES1_PKS1_PKT1_SA_S7_PKT3_PKT4_S5_PT5_21rocsparse_index_base_b.uses_flat_scratch, 0
	.set _ZN9rocsparseL18bsrxmvn_5x5_kernelILj50EfliaafEEvT2_20rocsparse_direction_NS_24const_host_device_scalarIT0_EES1_PKS1_PKT1_SA_S7_PKT3_PKT4_S5_PT5_21rocsparse_index_base_b.has_dyn_sized_stack, 0
	.set _ZN9rocsparseL18bsrxmvn_5x5_kernelILj50EfliaafEEvT2_20rocsparse_direction_NS_24const_host_device_scalarIT0_EES1_PKS1_PKT1_SA_S7_PKT3_PKT4_S5_PT5_21rocsparse_index_base_b.has_recursion, 0
	.set _ZN9rocsparseL18bsrxmvn_5x5_kernelILj50EfliaafEEvT2_20rocsparse_direction_NS_24const_host_device_scalarIT0_EES1_PKS1_PKT1_SA_S7_PKT3_PKT4_S5_PT5_21rocsparse_index_base_b.has_indirect_call, 0
	.section	.AMDGPU.csdata,"",@progbits
; Kernel info:
; codeLenInByte = 1340
; TotalNumSgprs: 26
; NumVgprs: 12
; ScratchSize: 0
; MemoryBound: 0
; FloatMode: 240
; IeeeMode: 1
; LDSByteSize: 200 bytes/workgroup (compile time only)
; SGPRBlocks: 0
; VGPRBlocks: 1
; NumSGPRsForWavesPerEU: 26
; NumVGPRsForWavesPerEU: 12
; Occupancy: 16
; WaveLimiterHint : 1
; COMPUTE_PGM_RSRC2:SCRATCH_EN: 0
; COMPUTE_PGM_RSRC2:USER_SGPR: 6
; COMPUTE_PGM_RSRC2:TRAP_HANDLER: 0
; COMPUTE_PGM_RSRC2:TGID_X_EN: 1
; COMPUTE_PGM_RSRC2:TGID_Y_EN: 0
; COMPUTE_PGM_RSRC2:TGID_Z_EN: 0
; COMPUTE_PGM_RSRC2:TIDIG_COMP_CNT: 0
	.section	.text._ZN9rocsparseL18bsrxmvn_5x5_kernelILj50EfllaafEEvT2_20rocsparse_direction_NS_24const_host_device_scalarIT0_EES1_PKS1_PKT1_SA_S7_PKT3_PKT4_S5_PT5_21rocsparse_index_base_b,"axG",@progbits,_ZN9rocsparseL18bsrxmvn_5x5_kernelILj50EfllaafEEvT2_20rocsparse_direction_NS_24const_host_device_scalarIT0_EES1_PKS1_PKT1_SA_S7_PKT3_PKT4_S5_PT5_21rocsparse_index_base_b,comdat
	.globl	_ZN9rocsparseL18bsrxmvn_5x5_kernelILj50EfllaafEEvT2_20rocsparse_direction_NS_24const_host_device_scalarIT0_EES1_PKS1_PKT1_SA_S7_PKT3_PKT4_S5_PT5_21rocsparse_index_base_b ; -- Begin function _ZN9rocsparseL18bsrxmvn_5x5_kernelILj50EfllaafEEvT2_20rocsparse_direction_NS_24const_host_device_scalarIT0_EES1_PKS1_PKT1_SA_S7_PKT3_PKT4_S5_PT5_21rocsparse_index_base_b
	.p2align	8
	.type	_ZN9rocsparseL18bsrxmvn_5x5_kernelILj50EfllaafEEvT2_20rocsparse_direction_NS_24const_host_device_scalarIT0_EES1_PKS1_PKT1_SA_S7_PKT3_PKT4_S5_PT5_21rocsparse_index_base_b,@function
_ZN9rocsparseL18bsrxmvn_5x5_kernelILj50EfllaafEEvT2_20rocsparse_direction_NS_24const_host_device_scalarIT0_EES1_PKS1_PKT1_SA_S7_PKT3_PKT4_S5_PT5_21rocsparse_index_base_b: ; @_ZN9rocsparseL18bsrxmvn_5x5_kernelILj50EfllaafEEvT2_20rocsparse_direction_NS_24const_host_device_scalarIT0_EES1_PKS1_PKT1_SA_S7_PKT3_PKT4_S5_PT5_21rocsparse_index_base_b
; %bb.0:
	s_clause 0x2
	s_load_dwordx2 s[12:13], s[4:5], 0x60
	s_load_dwordx2 s[10:11], s[4:5], 0x10
	;; [unrolled: 1-line block ×3, first 2 shown]
	s_waitcnt lgkmcnt(0)
	s_bitcmp1_b32 s13, 0
	s_cselect_b32 s0, -1, 0
	s_and_b32 vcc_lo, exec_lo, s0
	s_xor_b32 s0, s0, -1
	s_cbranch_vccnz .LBB23_2
; %bb.1:
	s_load_dword s10, s[10:11], 0x0
.LBB23_2:
	s_andn2_b32 vcc_lo, exec_lo, s0
	s_cbranch_vccnz .LBB23_4
; %bb.3:
	s_load_dword s8, s[8:9], 0x0
.LBB23_4:
	s_waitcnt lgkmcnt(0)
	v_cmp_neq_f32_e64 s0, s10, 0
	v_cmp_neq_f32_e64 s1, s8, 1.0
	s_mov_b32 s7, 0
	s_or_b32 s0, s0, s1
	s_andn2_b32 vcc_lo, exec_lo, s0
	s_cbranch_vccnz .LBB23_39
; %bb.5:
	s_clause 0x1
	s_load_dwordx4 s[0:3], s[4:5], 0x20
	s_load_dwordx2 s[14:15], s[4:5], 0x30
	s_waitcnt lgkmcnt(0)
	s_cmp_eq_u64 s[0:1], 0
	s_cbranch_scc1 .LBB23_7
; %bb.6:
	s_lshl_b64 s[6:7], s[6:7], 3
	s_add_u32 s0, s0, s6
	s_addc_u32 s1, s1, s7
	s_load_dwordx2 s[0:1], s[0:1], 0x0
	s_waitcnt lgkmcnt(0)
	s_sub_u32 s6, s0, s12
	s_subb_u32 s7, s1, 0
.LBB23_7:
	s_load_dword s1, s[4:5], 0x8
	v_mul_u32_u24_e32 v1, 0x3334, v0
	v_lshrrev_b32_e32 v2, 16, v1
	v_mul_lo_u16 v3, v2, 5
	s_waitcnt lgkmcnt(0)
	s_cmp_eq_u32 s1, 1
	s_cselect_b32 s0, -1, 0
	s_cmp_lg_u32 s1, 1
	s_cselect_b32 s9, -1, 0
	s_lshl_b64 s[16:17], s[6:7], 3
	s_add_u32 s2, s2, s16
	s_addc_u32 s3, s3, s17
	s_add_u32 s1, s2, 8
	s_addc_u32 s11, s3, 0
	;; [unrolled: 2-line block ×3, first 2 shown]
	s_cmp_eq_u64 s[14:15], 0
	s_cselect_b32 s17, s11, s16
	s_cselect_b32 s16, s1, s13
	s_load_dwordx2 s[14:15], s[2:3], 0x0
	s_load_dwordx2 s[16:17], s[16:17], 0x0
	s_waitcnt lgkmcnt(0)
	v_cmp_lt_i64_e64 s1, s[14:15], s[16:17]
	s_and_b32 vcc_lo, exec_lo, s1
	s_cbranch_vccnz .LBB23_9
; %bb.8:
	v_mov_b32_e32 v1, 0
	s_mov_b32 s1, 0
	s_branch .LBB23_10
.LBB23_9:
	s_mov_b32 s1, -1
.LBB23_10:
	s_load_dwordx2 s[2:3], s[4:5], 0x58
	v_sub_nc_u16 v9, v0, v3
	v_mov_b32_e32 v8, 0
	s_andn2_b32 vcc_lo, exec_lo, s1
	s_cbranch_vccnz .LBB23_15
; %bb.11:
	v_mul_lo_u16 v1, v2, 52
	v_mov_b32_e32 v6, 0xa3e
	s_clause 0x1
	s_load_dwordx4 s[20:23], s[4:5], 0x38
	s_load_dwordx2 s[18:19], s[4:5], 0x48
	s_mul_i32 s5, s12, 25
	s_mul_hi_u32 s1, s12, 25
	v_lshrrev_b16 v1, 8, v1
	s_sub_u32 s4, s16, s12
	v_mul_lo_u16 v3, v1, 5
	v_mov_b32_e32 v1, 0
	v_sub_nc_u16 v2, v2, v3
	v_mul_u32_u24_sdwa v3, v0, v6 dst_sel:DWORD dst_unused:UNUSED_PAD src0_sel:WORD_0 src1_sel:DWORD
	v_mad_u64_u32 v[4:5], null, s14, 25, v[0:1]
	v_and_b32_e32 v6, 0xffff, v9
	v_and_b32_e32 v7, 0xff, v2
	v_lshrrev_b32_e32 v10, 16, v3
	v_mov_b32_e32 v2, v5
	v_cndmask_b32_e64 v3, v6, v7, s0
	v_add_co_u32 v7, s0, s14, v10
	v_add_co_ci_u32_e64 v8, null, s15, 0, s0
	v_mad_u64_u32 v[5:6], null, s15, 25, v[2:3]
	v_sub_co_u32 v6, vcc_lo, v7, s12
	v_subrev_co_ci_u32_e64 v7, null, 0, v8, vcc_lo
	v_sub_co_u32 v4, vcc_lo, v4, s5
	v_subrev_co_ci_u32_e64 v5, null, s1, v5, vcc_lo
	v_lshlrev_b64 v[6:7], 3, v[6:7]
	s_waitcnt lgkmcnt(0)
	v_add_co_u32 v4, vcc_lo, s22, v4
	v_add_co_u32 v2, s0, s18, v3
	v_add_co_ci_u32_e64 v5, null, s23, v5, vcc_lo
	v_add_co_u32 v6, vcc_lo, s20, v6
	v_add_co_ci_u32_e64 v3, null, s19, 0, s0
	v_add_co_ci_u32_e64 v7, null, s21, v7, vcc_lo
	v_mov_b32_e32 v8, v1
	s_subb_u32 s5, s17, 0
	s_sub_u32 s0, s14, s12
	s_subb_u32 s1, s15, 0
	s_inst_prefetch 0x1
	s_branch .LBB23_13
	.p2align	6
.LBB23_12:                              ;   in Loop: Header=BB23_13 Depth=1
	s_or_b32 exec_lo, exec_lo, s11
	s_add_u32 s0, s0, 2
	s_addc_u32 s1, s1, 0
	v_add_co_u32 v4, vcc_lo, v4, 50
	v_cmp_ge_i64_e64 s11, s[0:1], s[4:5]
	v_add_co_ci_u32_e64 v5, null, 0, v5, vcc_lo
	v_add_co_u32 v6, vcc_lo, v6, 16
	v_add_co_ci_u32_e64 v7, null, 0, v7, vcc_lo
	s_and_b32 vcc_lo, exec_lo, s11
	s_cbranch_vccnz .LBB23_15
.LBB23_13:                              ; =>This Inner Loop Header: Depth=1
	v_add_co_u32 v11, s11, v10, s0
	v_add_co_ci_u32_e64 v12, null, 0, s1, s11
	s_mov_b32 s11, exec_lo
	v_cmpx_gt_i64_e64 s[4:5], v[11:12]
	s_cbranch_execz .LBB23_12
; %bb.14:                               ;   in Loop: Header=BB23_13 Depth=1
	global_load_dwordx2 v[11:12], v[6:7], off
	s_waitcnt vmcnt(0)
	v_sub_co_u32 v11, vcc_lo, v11, s12
	v_subrev_co_ci_u32_e64 v13, null, 0, v12, vcc_lo
	v_mad_u64_u32 v[11:12], null, v11, 5, v[2:3]
	v_mad_u64_u32 v[12:13], null, v13, 5, v[12:13]
	global_load_sbyte v13, v[4:5], off
	global_load_sbyte v11, v[11:12], off
	s_waitcnt vmcnt(1)
	v_cvt_f32_i32_e32 v12, v13
	s_waitcnt vmcnt(0)
	v_cvt_f32_i32_e32 v11, v11
	v_fmac_f32_e32 v8, v12, v11
	s_branch .LBB23_12
.LBB23_15:
	s_inst_prefetch 0x2
	v_lshlrev_b32_e32 v2, 2, v0
	s_and_b32 vcc_lo, exec_lo, s9
	ds_write_b32 v2, v8
	s_waitcnt lgkmcnt(0)
	buffer_gl0_inv
	s_cbranch_vccz .LBB23_25
; %bb.16:
	s_mov_b32 s0, exec_lo
	v_cmpx_gt_u32_e32 25, v0
	s_cbranch_execz .LBB23_18
; %bb.17:
	ds_read2_b32 v[3:4], v2 offset1:25
	s_waitcnt lgkmcnt(0)
	v_add_f32_e32 v3, v4, v3
	ds_write_b32 v2, v3
.LBB23_18:
	s_or_b32 exec_lo, exec_lo, s0
	s_mov_b32 s0, exec_lo
	s_waitcnt lgkmcnt(0)
	buffer_gl0_inv
	v_cmpx_eq_u16_e32 0, v9
	s_cbranch_execz .LBB23_20
; %bb.19:
	ds_read2_b32 v[3:4], v2 offset1:4
	s_waitcnt lgkmcnt(0)
	v_add_f32_e32 v3, v4, v3
	ds_write_b32 v2, v3
.LBB23_20:
	s_or_b32 exec_lo, exec_lo, s0
	s_mov_b32 s0, exec_lo
	s_waitcnt lgkmcnt(0)
	buffer_gl0_inv
	v_cmpx_gt_u16_e32 2, v9
	s_cbranch_execz .LBB23_22
; %bb.21:
	ds_read2_b32 v[3:4], v2 offset1:2
	s_waitcnt lgkmcnt(0)
	v_add_f32_e32 v3, v4, v3
	ds_write_b32 v2, v3
.LBB23_22:
	s_or_b32 exec_lo, exec_lo, s0
	v_mov_b32_e32 v3, v8
	s_mov_b32 s0, exec_lo
	s_waitcnt lgkmcnt(0)
	buffer_gl0_inv
	v_cmpx_gt_u32_e32 5, v0
	s_cbranch_execz .LBB23_24
; %bb.23:
	v_lshl_add_u32 v3, v0, 4, v2
	ds_read2_b32 v[3:4], v3 offset1:1
	s_waitcnt lgkmcnt(0)
	v_add_f32_e32 v3, v3, v4
.LBB23_24:
	s_or_b32 exec_lo, exec_lo, s0
	s_branch .LBB23_35
.LBB23_25:
                                        ; implicit-def: $vgpr3
	s_cbranch_execz .LBB23_35
; %bb.26:
	v_cmp_gt_u32_e32 vcc_lo, 10, v0
	s_and_saveexec_b32 s0, vcc_lo
	s_cbranch_execz .LBB23_28
; %bb.27:
	ds_read2_b32 v[3:4], v2 offset1:40
	s_waitcnt lgkmcnt(0)
	v_add_f32_e32 v3, v4, v3
	ds_write_b32 v2, v3
.LBB23_28:
	s_or_b32 exec_lo, exec_lo, s0
	s_mov_b32 s1, exec_lo
	s_waitcnt lgkmcnt(0)
	buffer_gl0_inv
	v_cmpx_gt_u32_e32 20, v0
	s_cbranch_execz .LBB23_30
; %bb.29:
	ds_read2_b32 v[3:4], v2 offset1:20
	s_waitcnt lgkmcnt(0)
	v_add_f32_e32 v3, v4, v3
	ds_write_b32 v2, v3
.LBB23_30:
	s_or_b32 exec_lo, exec_lo, s1
	s_waitcnt lgkmcnt(0)
	buffer_gl0_inv
	s_and_saveexec_b32 s0, vcc_lo
	s_cbranch_execz .LBB23_32
; %bb.31:
	ds_read2_b32 v[3:4], v2 offset1:10
	s_waitcnt lgkmcnt(0)
	v_add_f32_e32 v3, v4, v3
	ds_write_b32 v2, v3
.LBB23_32:
	s_or_b32 exec_lo, exec_lo, s0
	s_mov_b32 s0, exec_lo
	s_waitcnt lgkmcnt(0)
	buffer_gl0_inv
	v_cmpx_gt_u32_e32 5, v0
	s_cbranch_execz .LBB23_34
; %bb.33:
	ds_read2_b32 v[2:3], v2 offset1:5
	s_waitcnt lgkmcnt(0)
	v_add_f32_e32 v8, v2, v3
.LBB23_34:
	s_or_b32 exec_lo, exec_lo, s0
	v_mov_b32_e32 v3, v8
.LBB23_35:
	s_mov_b32 s0, exec_lo
	v_cmpx_gt_u32_e32 5, v0
	s_cbranch_execz .LBB23_39
; %bb.36:
	v_cmp_eq_f32_e64 s4, s8, 0
	v_lshlrev_b64 v[0:1], 2, v[0:1]
	v_mul_f32_e32 v2, s10, v3
	s_mov_b32 s1, 0
	s_mul_i32 s0, s7, 20
	s_and_b32 vcc_lo, exec_lo, s4
	s_mul_hi_u32 s4, s6, 20
	s_mul_i32 s5, s6, 20
	s_cbranch_vccz .LBB23_40
; %bb.37:
	s_add_i32 s6, s4, s0
	s_add_u32 s7, s2, s5
	s_addc_u32 s6, s3, s6
	v_add_co_u32 v3, vcc_lo, s7, v0
	v_add_co_ci_u32_e64 v4, null, s6, v1, vcc_lo
	global_store_dword v[3:4], v2, off
	s_andn2_b32 vcc_lo, exec_lo, s1
	s_cbranch_vccnz .LBB23_39
.LBB23_38:
	s_add_i32 s4, s4, s0
	s_add_u32 s0, s2, s5
	s_addc_u32 s1, s3, s4
	v_add_co_u32 v0, vcc_lo, s0, v0
	v_add_co_ci_u32_e64 v1, null, s1, v1, vcc_lo
	global_load_dword v3, v[0:1], off
	s_waitcnt vmcnt(0)
	v_fmac_f32_e32 v2, s8, v3
	global_store_dword v[0:1], v2, off
.LBB23_39:
	s_endpgm
.LBB23_40:
	s_branch .LBB23_38
	.section	.rodata,"a",@progbits
	.p2align	6, 0x0
	.amdhsa_kernel _ZN9rocsparseL18bsrxmvn_5x5_kernelILj50EfllaafEEvT2_20rocsparse_direction_NS_24const_host_device_scalarIT0_EES1_PKS1_PKT1_SA_S7_PKT3_PKT4_S5_PT5_21rocsparse_index_base_b
		.amdhsa_group_segment_fixed_size 200
		.amdhsa_private_segment_fixed_size 0
		.amdhsa_kernarg_size 104
		.amdhsa_user_sgpr_count 6
		.amdhsa_user_sgpr_private_segment_buffer 1
		.amdhsa_user_sgpr_dispatch_ptr 0
		.amdhsa_user_sgpr_queue_ptr 0
		.amdhsa_user_sgpr_kernarg_segment_ptr 1
		.amdhsa_user_sgpr_dispatch_id 0
		.amdhsa_user_sgpr_flat_scratch_init 0
		.amdhsa_user_sgpr_private_segment_size 0
		.amdhsa_wavefront_size32 1
		.amdhsa_uses_dynamic_stack 0
		.amdhsa_system_sgpr_private_segment_wavefront_offset 0
		.amdhsa_system_sgpr_workgroup_id_x 1
		.amdhsa_system_sgpr_workgroup_id_y 0
		.amdhsa_system_sgpr_workgroup_id_z 0
		.amdhsa_system_sgpr_workgroup_info 0
		.amdhsa_system_vgpr_workitem_id 0
		.amdhsa_next_free_vgpr 14
		.amdhsa_next_free_sgpr 24
		.amdhsa_reserve_vcc 1
		.amdhsa_reserve_flat_scratch 0
		.amdhsa_float_round_mode_32 0
		.amdhsa_float_round_mode_16_64 0
		.amdhsa_float_denorm_mode_32 3
		.amdhsa_float_denorm_mode_16_64 3
		.amdhsa_dx10_clamp 1
		.amdhsa_ieee_mode 1
		.amdhsa_fp16_overflow 0
		.amdhsa_workgroup_processor_mode 1
		.amdhsa_memory_ordered 1
		.amdhsa_forward_progress 1
		.amdhsa_shared_vgpr_count 0
		.amdhsa_exception_fp_ieee_invalid_op 0
		.amdhsa_exception_fp_denorm_src 0
		.amdhsa_exception_fp_ieee_div_zero 0
		.amdhsa_exception_fp_ieee_overflow 0
		.amdhsa_exception_fp_ieee_underflow 0
		.amdhsa_exception_fp_ieee_inexact 0
		.amdhsa_exception_int_div_zero 0
	.end_amdhsa_kernel
	.section	.text._ZN9rocsparseL18bsrxmvn_5x5_kernelILj50EfllaafEEvT2_20rocsparse_direction_NS_24const_host_device_scalarIT0_EES1_PKS1_PKT1_SA_S7_PKT3_PKT4_S5_PT5_21rocsparse_index_base_b,"axG",@progbits,_ZN9rocsparseL18bsrxmvn_5x5_kernelILj50EfllaafEEvT2_20rocsparse_direction_NS_24const_host_device_scalarIT0_EES1_PKS1_PKT1_SA_S7_PKT3_PKT4_S5_PT5_21rocsparse_index_base_b,comdat
.Lfunc_end23:
	.size	_ZN9rocsparseL18bsrxmvn_5x5_kernelILj50EfllaafEEvT2_20rocsparse_direction_NS_24const_host_device_scalarIT0_EES1_PKS1_PKT1_SA_S7_PKT3_PKT4_S5_PT5_21rocsparse_index_base_b, .Lfunc_end23-_ZN9rocsparseL18bsrxmvn_5x5_kernelILj50EfllaafEEvT2_20rocsparse_direction_NS_24const_host_device_scalarIT0_EES1_PKS1_PKT1_SA_S7_PKT3_PKT4_S5_PT5_21rocsparse_index_base_b
                                        ; -- End function
	.set _ZN9rocsparseL18bsrxmvn_5x5_kernelILj50EfllaafEEvT2_20rocsparse_direction_NS_24const_host_device_scalarIT0_EES1_PKS1_PKT1_SA_S7_PKT3_PKT4_S5_PT5_21rocsparse_index_base_b.num_vgpr, 14
	.set _ZN9rocsparseL18bsrxmvn_5x5_kernelILj50EfllaafEEvT2_20rocsparse_direction_NS_24const_host_device_scalarIT0_EES1_PKS1_PKT1_SA_S7_PKT3_PKT4_S5_PT5_21rocsparse_index_base_b.num_agpr, 0
	.set _ZN9rocsparseL18bsrxmvn_5x5_kernelILj50EfllaafEEvT2_20rocsparse_direction_NS_24const_host_device_scalarIT0_EES1_PKS1_PKT1_SA_S7_PKT3_PKT4_S5_PT5_21rocsparse_index_base_b.numbered_sgpr, 24
	.set _ZN9rocsparseL18bsrxmvn_5x5_kernelILj50EfllaafEEvT2_20rocsparse_direction_NS_24const_host_device_scalarIT0_EES1_PKS1_PKT1_SA_S7_PKT3_PKT4_S5_PT5_21rocsparse_index_base_b.num_named_barrier, 0
	.set _ZN9rocsparseL18bsrxmvn_5x5_kernelILj50EfllaafEEvT2_20rocsparse_direction_NS_24const_host_device_scalarIT0_EES1_PKS1_PKT1_SA_S7_PKT3_PKT4_S5_PT5_21rocsparse_index_base_b.private_seg_size, 0
	.set _ZN9rocsparseL18bsrxmvn_5x5_kernelILj50EfllaafEEvT2_20rocsparse_direction_NS_24const_host_device_scalarIT0_EES1_PKS1_PKT1_SA_S7_PKT3_PKT4_S5_PT5_21rocsparse_index_base_b.uses_vcc, 1
	.set _ZN9rocsparseL18bsrxmvn_5x5_kernelILj50EfllaafEEvT2_20rocsparse_direction_NS_24const_host_device_scalarIT0_EES1_PKS1_PKT1_SA_S7_PKT3_PKT4_S5_PT5_21rocsparse_index_base_b.uses_flat_scratch, 0
	.set _ZN9rocsparseL18bsrxmvn_5x5_kernelILj50EfllaafEEvT2_20rocsparse_direction_NS_24const_host_device_scalarIT0_EES1_PKS1_PKT1_SA_S7_PKT3_PKT4_S5_PT5_21rocsparse_index_base_b.has_dyn_sized_stack, 0
	.set _ZN9rocsparseL18bsrxmvn_5x5_kernelILj50EfllaafEEvT2_20rocsparse_direction_NS_24const_host_device_scalarIT0_EES1_PKS1_PKT1_SA_S7_PKT3_PKT4_S5_PT5_21rocsparse_index_base_b.has_recursion, 0
	.set _ZN9rocsparseL18bsrxmvn_5x5_kernelILj50EfllaafEEvT2_20rocsparse_direction_NS_24const_host_device_scalarIT0_EES1_PKS1_PKT1_SA_S7_PKT3_PKT4_S5_PT5_21rocsparse_index_base_b.has_indirect_call, 0
	.section	.AMDGPU.csdata,"",@progbits
; Kernel info:
; codeLenInByte = 1408
; TotalNumSgprs: 26
; NumVgprs: 14
; ScratchSize: 0
; MemoryBound: 0
; FloatMode: 240
; IeeeMode: 1
; LDSByteSize: 200 bytes/workgroup (compile time only)
; SGPRBlocks: 0
; VGPRBlocks: 1
; NumSGPRsForWavesPerEU: 26
; NumVGPRsForWavesPerEU: 14
; Occupancy: 16
; WaveLimiterHint : 1
; COMPUTE_PGM_RSRC2:SCRATCH_EN: 0
; COMPUTE_PGM_RSRC2:USER_SGPR: 6
; COMPUTE_PGM_RSRC2:TRAP_HANDLER: 0
; COMPUTE_PGM_RSRC2:TGID_X_EN: 1
; COMPUTE_PGM_RSRC2:TGID_Y_EN: 0
; COMPUTE_PGM_RSRC2:TGID_Z_EN: 0
; COMPUTE_PGM_RSRC2:TIDIG_COMP_CNT: 0
	.section	.text._ZN9rocsparseL18bsrxmvn_5x5_kernelILj50EfiiDF16_DF16_fEEvT2_20rocsparse_direction_NS_24const_host_device_scalarIT0_EES1_PKS1_PKT1_SA_S7_PKT3_PKT4_S5_PT5_21rocsparse_index_base_b,"axG",@progbits,_ZN9rocsparseL18bsrxmvn_5x5_kernelILj50EfiiDF16_DF16_fEEvT2_20rocsparse_direction_NS_24const_host_device_scalarIT0_EES1_PKS1_PKT1_SA_S7_PKT3_PKT4_S5_PT5_21rocsparse_index_base_b,comdat
	.globl	_ZN9rocsparseL18bsrxmvn_5x5_kernelILj50EfiiDF16_DF16_fEEvT2_20rocsparse_direction_NS_24const_host_device_scalarIT0_EES1_PKS1_PKT1_SA_S7_PKT3_PKT4_S5_PT5_21rocsparse_index_base_b ; -- Begin function _ZN9rocsparseL18bsrxmvn_5x5_kernelILj50EfiiDF16_DF16_fEEvT2_20rocsparse_direction_NS_24const_host_device_scalarIT0_EES1_PKS1_PKT1_SA_S7_PKT3_PKT4_S5_PT5_21rocsparse_index_base_b
	.p2align	8
	.type	_ZN9rocsparseL18bsrxmvn_5x5_kernelILj50EfiiDF16_DF16_fEEvT2_20rocsparse_direction_NS_24const_host_device_scalarIT0_EES1_PKS1_PKT1_SA_S7_PKT3_PKT4_S5_PT5_21rocsparse_index_base_b,@function
_ZN9rocsparseL18bsrxmvn_5x5_kernelILj50EfiiDF16_DF16_fEEvT2_20rocsparse_direction_NS_24const_host_device_scalarIT0_EES1_PKS1_PKT1_SA_S7_PKT3_PKT4_S5_PT5_21rocsparse_index_base_b: ; @_ZN9rocsparseL18bsrxmvn_5x5_kernelILj50EfiiDF16_DF16_fEEvT2_20rocsparse_direction_NS_24const_host_device_scalarIT0_EES1_PKS1_PKT1_SA_S7_PKT3_PKT4_S5_PT5_21rocsparse_index_base_b
; %bb.0:
	s_clause 0x2
	s_load_dwordx2 s[14:15], s[4:5], 0x58
	s_load_dwordx2 s[10:11], s[4:5], 0x8
	;; [unrolled: 1-line block ×3, first 2 shown]
	s_waitcnt lgkmcnt(0)
	s_bitcmp1_b32 s15, 0
	s_cselect_b32 s0, -1, 0
	s_and_b32 vcc_lo, exec_lo, s0
	s_xor_b32 s0, s0, -1
	s_cbranch_vccnz .LBB24_2
; %bb.1:
	s_load_dword s10, s[10:11], 0x0
.LBB24_2:
	s_andn2_b32 vcc_lo, exec_lo, s0
	s_cbranch_vccnz .LBB24_4
; %bb.3:
	s_load_dword s8, s[8:9], 0x0
.LBB24_4:
	s_waitcnt lgkmcnt(0)
	v_cmp_neq_f32_e64 s0, s10, 0
	v_cmp_neq_f32_e64 s1, s8, 1.0
	s_or_b32 s0, s0, s1
	s_andn2_b32 vcc_lo, exec_lo, s0
	s_cbranch_vccnz .LBB24_36
; %bb.5:
	s_clause 0x1
	s_load_dwordx4 s[0:3], s[4:5], 0x18
	s_load_dwordx2 s[12:13], s[4:5], 0x28
	s_waitcnt lgkmcnt(0)
	s_cmp_eq_u64 s[0:1], 0
	s_cbranch_scc1 .LBB24_7
; %bb.6:
	s_ashr_i32 s7, s6, 31
	s_lshl_b64 s[6:7], s[6:7], 2
	s_add_u32 s0, s0, s6
	s_addc_u32 s1, s1, s7
	s_load_dword s0, s[0:1], 0x0
	s_waitcnt lgkmcnt(0)
	s_sub_i32 s6, s0, s14
.LBB24_7:
	s_load_dword s0, s[4:5], 0x4
	v_mul_u32_u24_e32 v1, 0x3334, v0
	v_mov_b32_e32 v6, 0
	v_lshrrev_b32_e32 v1, 16, v1
	v_mul_lo_u16 v2, v1, 5
	v_sub_nc_u16 v7, v0, v2
	s_waitcnt lgkmcnt(0)
	s_cmp_eq_u32 s0, 1
	s_cselect_b32 vcc_lo, -1, 0
	s_cmp_lg_u32 s0, 1
	s_cselect_b32 s9, -1, 0
	s_ashr_i32 s7, s6, 31
	s_lshl_b64 s[0:1], s[6:7], 2
	s_add_u32 s2, s2, s0
	s_addc_u32 s3, s3, s1
	s_add_u32 s7, s2, 4
	s_addc_u32 s11, s3, 0
	;; [unrolled: 2-line block ×3, first 2 shown]
	s_cmp_eq_u64 s[12:13], 0
	s_load_dwordx2 s[12:13], s[4:5], 0x50
	s_cselect_b32 s1, s11, s1
	s_cselect_b32 s0, s7, s0
	s_load_dword s11, s[2:3], 0x0
	s_load_dword s7, s[0:1], 0x0
	s_waitcnt lgkmcnt(0)
	s_cmp_ge_i32 s11, s7
	s_cbranch_scc1 .LBB24_12
; %bb.8:
	v_mul_lo_u16 v2, v1, 52
	s_clause 0x1
	s_load_dwordx4 s[0:3], s[4:5], 0x30
	s_load_dwordx2 s[4:5], s[4:5], 0x40
	v_mov_b32_e32 v4, 0xa3e
	v_and_b32_e32 v5, 0xffff, v7
	s_mul_i32 s15, s14, 25
	v_lshrrev_b16 v2, 8, v2
	s_sub_i32 s7, s7, s14
	v_mul_u32_u24_sdwa v8, v0, v4 dst_sel:DWORD dst_unused:UNUSED_PAD src0_sel:WORD_0 src1_sel:DWORD
	v_mul_lo_u16 v2, v2, 5
	v_sub_nc_u16 v3, v1, v2
	v_mad_u64_u32 v[1:2], null, s11, 25, v[0:1]
	v_mov_b32_e32 v2, 0
	s_sub_i32 s11, s11, s14
	v_and_b32_e32 v3, 0xff, v3
	v_mov_b32_e32 v6, v2
	v_subrev_nc_u32_e32 v1, s15, v1
	v_cndmask_b32_e32 v3, v5, v3, vcc_lo
	s_inst_prefetch 0x1
	s_branch .LBB24_10
	.p2align	6
.LBB24_9:                               ;   in Loop: Header=BB24_10 Depth=1
	s_or_b32 exec_lo, exec_lo, s15
	v_add_nc_u32_e32 v1, 50, v1
	s_add_i32 s11, s11, 2
	s_cmp_ge_i32 s11, s7
	s_cbranch_scc1 .LBB24_12
.LBB24_10:                              ; =>This Inner Loop Header: Depth=1
	v_add_nc_u32_sdwa v4, v8, s11 dst_sel:DWORD dst_unused:UNUSED_PAD src0_sel:WORD_1 src1_sel:DWORD
	s_mov_b32 s15, exec_lo
	v_cmpx_gt_i32_e64 s7, v4
	s_cbranch_execz .LBB24_9
; %bb.11:                               ;   in Loop: Header=BB24_10 Depth=1
	v_ashrrev_i32_e32 v5, 31, v4
	v_lshlrev_b64 v[9:10], 1, v[1:2]
	v_lshlrev_b64 v[4:5], 2, v[4:5]
	s_waitcnt lgkmcnt(0)
	v_add_co_u32 v4, vcc_lo, s0, v4
	v_add_co_ci_u32_e64 v5, null, s1, v5, vcc_lo
	v_add_co_u32 v9, vcc_lo, s2, v9
	v_add_co_ci_u32_e64 v10, null, s3, v10, vcc_lo
	global_load_dword v4, v[4:5], off
	s_waitcnt vmcnt(0)
	v_subrev_nc_u32_e32 v4, s14, v4
	v_mad_u64_u32 v[4:5], null, v4, 5, v[3:4]
	v_ashrrev_i32_e32 v5, 31, v4
	v_lshlrev_b64 v[4:5], 1, v[4:5]
	v_add_co_u32 v4, vcc_lo, s4, v4
	v_add_co_ci_u32_e64 v5, null, s5, v5, vcc_lo
	global_load_ushort v9, v[9:10], off
	global_load_ushort v4, v[4:5], off
	s_waitcnt vmcnt(0)
	v_fma_mix_f32 v6, v9, v4, v6 op_sel_hi:[1,1,0]
	s_branch .LBB24_9
.LBB24_12:
	s_inst_prefetch 0x2
	v_lshlrev_b32_e32 v1, 2, v0
	s_and_b32 vcc_lo, exec_lo, s9
	ds_write_b32 v1, v6
	s_waitcnt lgkmcnt(0)
	buffer_gl0_inv
	s_cbranch_vccz .LBB24_22
; %bb.13:
	s_mov_b32 s0, exec_lo
	v_cmpx_gt_u32_e32 25, v0
	s_cbranch_execz .LBB24_15
; %bb.14:
	ds_read2_b32 v[2:3], v1 offset1:25
	s_waitcnt lgkmcnt(0)
	v_add_f32_e32 v2, v3, v2
	ds_write_b32 v1, v2
.LBB24_15:
	s_or_b32 exec_lo, exec_lo, s0
	s_mov_b32 s0, exec_lo
	s_waitcnt lgkmcnt(0)
	buffer_gl0_inv
	v_cmpx_eq_u16_e32 0, v7
	s_cbranch_execz .LBB24_17
; %bb.16:
	ds_read2_b32 v[2:3], v1 offset1:4
	s_waitcnt lgkmcnt(0)
	v_add_f32_e32 v2, v3, v2
	ds_write_b32 v1, v2
.LBB24_17:
	s_or_b32 exec_lo, exec_lo, s0
	s_mov_b32 s0, exec_lo
	s_waitcnt lgkmcnt(0)
	buffer_gl0_inv
	v_cmpx_gt_u16_e32 2, v7
	s_cbranch_execz .LBB24_19
; %bb.18:
	ds_read2_b32 v[2:3], v1 offset1:2
	s_waitcnt lgkmcnt(0)
	v_add_f32_e32 v2, v3, v2
	ds_write_b32 v1, v2
.LBB24_19:
	s_or_b32 exec_lo, exec_lo, s0
	v_mov_b32_e32 v2, v6
	s_mov_b32 s0, exec_lo
	s_waitcnt lgkmcnt(0)
	buffer_gl0_inv
	v_cmpx_gt_u32_e32 5, v0
	s_cbranch_execz .LBB24_21
; %bb.20:
	v_lshl_add_u32 v2, v0, 4, v1
	ds_read2_b32 v[2:3], v2 offset1:1
	s_waitcnt lgkmcnt(0)
	v_add_f32_e32 v2, v2, v3
.LBB24_21:
	s_or_b32 exec_lo, exec_lo, s0
	s_branch .LBB24_32
.LBB24_22:
                                        ; implicit-def: $vgpr2
	s_cbranch_execz .LBB24_32
; %bb.23:
	v_cmp_gt_u32_e32 vcc_lo, 10, v0
	s_and_saveexec_b32 s0, vcc_lo
	s_cbranch_execz .LBB24_25
; %bb.24:
	ds_read2_b32 v[2:3], v1 offset1:40
	s_waitcnt lgkmcnt(0)
	v_add_f32_e32 v2, v3, v2
	ds_write_b32 v1, v2
.LBB24_25:
	s_or_b32 exec_lo, exec_lo, s0
	s_mov_b32 s1, exec_lo
	s_waitcnt lgkmcnt(0)
	buffer_gl0_inv
	v_cmpx_gt_u32_e32 20, v0
	s_cbranch_execz .LBB24_27
; %bb.26:
	ds_read2_b32 v[2:3], v1 offset1:20
	s_waitcnt lgkmcnt(0)
	v_add_f32_e32 v2, v3, v2
	ds_write_b32 v1, v2
.LBB24_27:
	s_or_b32 exec_lo, exec_lo, s1
	s_waitcnt lgkmcnt(0)
	buffer_gl0_inv
	s_and_saveexec_b32 s0, vcc_lo
	s_cbranch_execz .LBB24_29
; %bb.28:
	ds_read2_b32 v[2:3], v1 offset1:10
	s_waitcnt lgkmcnt(0)
	v_add_f32_e32 v2, v3, v2
	ds_write_b32 v1, v2
.LBB24_29:
	s_or_b32 exec_lo, exec_lo, s0
	s_mov_b32 s0, exec_lo
	s_waitcnt lgkmcnt(0)
	buffer_gl0_inv
	v_cmpx_gt_u32_e32 5, v0
	s_cbranch_execz .LBB24_31
; %bb.30:
	ds_read2_b32 v[1:2], v1 offset1:5
	s_waitcnt lgkmcnt(0)
	v_add_f32_e32 v6, v1, v2
.LBB24_31:
	s_or_b32 exec_lo, exec_lo, s0
	v_mov_b32_e32 v2, v6
.LBB24_32:
	s_mov_b32 s0, exec_lo
	v_cmpx_gt_u32_e32 5, v0
	s_cbranch_execz .LBB24_36
; %bb.33:
	v_cmp_eq_f32_e64 s0, s8, 0
	v_mul_f32_e32 v1, s10, v2
	s_and_b32 vcc_lo, exec_lo, s0
	s_mov_b32 s0, 0
	s_cbranch_vccz .LBB24_37
; %bb.34:
	v_mad_u64_u32 v[2:3], null, s6, 5, v[0:1]
	v_mov_b32_e32 v3, 0
	v_lshlrev_b64 v[2:3], 2, v[2:3]
	v_add_co_u32 v2, vcc_lo, s12, v2
	v_add_co_ci_u32_e64 v3, null, s13, v3, vcc_lo
	global_store_dword v[2:3], v1, off
	s_andn2_b32 vcc_lo, exec_lo, s0
	s_cbranch_vccnz .LBB24_36
.LBB24_35:
	v_mad_u64_u32 v[2:3], null, s6, 5, v[0:1]
	v_mov_b32_e32 v3, 0
	v_lshlrev_b64 v[2:3], 2, v[2:3]
	v_add_co_u32 v2, vcc_lo, s12, v2
	v_add_co_ci_u32_e64 v3, null, s13, v3, vcc_lo
	global_load_dword v0, v[2:3], off
	s_waitcnt vmcnt(0)
	v_fmac_f32_e32 v1, s8, v0
	global_store_dword v[2:3], v1, off
.LBB24_36:
	s_endpgm
.LBB24_37:
	s_branch .LBB24_35
	.section	.rodata,"a",@progbits
	.p2align	6, 0x0
	.amdhsa_kernel _ZN9rocsparseL18bsrxmvn_5x5_kernelILj50EfiiDF16_DF16_fEEvT2_20rocsparse_direction_NS_24const_host_device_scalarIT0_EES1_PKS1_PKT1_SA_S7_PKT3_PKT4_S5_PT5_21rocsparse_index_base_b
		.amdhsa_group_segment_fixed_size 200
		.amdhsa_private_segment_fixed_size 0
		.amdhsa_kernarg_size 96
		.amdhsa_user_sgpr_count 6
		.amdhsa_user_sgpr_private_segment_buffer 1
		.amdhsa_user_sgpr_dispatch_ptr 0
		.amdhsa_user_sgpr_queue_ptr 0
		.amdhsa_user_sgpr_kernarg_segment_ptr 1
		.amdhsa_user_sgpr_dispatch_id 0
		.amdhsa_user_sgpr_flat_scratch_init 0
		.amdhsa_user_sgpr_private_segment_size 0
		.amdhsa_wavefront_size32 1
		.amdhsa_uses_dynamic_stack 0
		.amdhsa_system_sgpr_private_segment_wavefront_offset 0
		.amdhsa_system_sgpr_workgroup_id_x 1
		.amdhsa_system_sgpr_workgroup_id_y 0
		.amdhsa_system_sgpr_workgroup_id_z 0
		.amdhsa_system_sgpr_workgroup_info 0
		.amdhsa_system_vgpr_workitem_id 0
		.amdhsa_next_free_vgpr 11
		.amdhsa_next_free_sgpr 16
		.amdhsa_reserve_vcc 1
		.amdhsa_reserve_flat_scratch 0
		.amdhsa_float_round_mode_32 0
		.amdhsa_float_round_mode_16_64 0
		.amdhsa_float_denorm_mode_32 3
		.amdhsa_float_denorm_mode_16_64 3
		.amdhsa_dx10_clamp 1
		.amdhsa_ieee_mode 1
		.amdhsa_fp16_overflow 0
		.amdhsa_workgroup_processor_mode 1
		.amdhsa_memory_ordered 1
		.amdhsa_forward_progress 1
		.amdhsa_shared_vgpr_count 0
		.amdhsa_exception_fp_ieee_invalid_op 0
		.amdhsa_exception_fp_denorm_src 0
		.amdhsa_exception_fp_ieee_div_zero 0
		.amdhsa_exception_fp_ieee_overflow 0
		.amdhsa_exception_fp_ieee_underflow 0
		.amdhsa_exception_fp_ieee_inexact 0
		.amdhsa_exception_int_div_zero 0
	.end_amdhsa_kernel
	.section	.text._ZN9rocsparseL18bsrxmvn_5x5_kernelILj50EfiiDF16_DF16_fEEvT2_20rocsparse_direction_NS_24const_host_device_scalarIT0_EES1_PKS1_PKT1_SA_S7_PKT3_PKT4_S5_PT5_21rocsparse_index_base_b,"axG",@progbits,_ZN9rocsparseL18bsrxmvn_5x5_kernelILj50EfiiDF16_DF16_fEEvT2_20rocsparse_direction_NS_24const_host_device_scalarIT0_EES1_PKS1_PKT1_SA_S7_PKT3_PKT4_S5_PT5_21rocsparse_index_base_b,comdat
.Lfunc_end24:
	.size	_ZN9rocsparseL18bsrxmvn_5x5_kernelILj50EfiiDF16_DF16_fEEvT2_20rocsparse_direction_NS_24const_host_device_scalarIT0_EES1_PKS1_PKT1_SA_S7_PKT3_PKT4_S5_PT5_21rocsparse_index_base_b, .Lfunc_end24-_ZN9rocsparseL18bsrxmvn_5x5_kernelILj50EfiiDF16_DF16_fEEvT2_20rocsparse_direction_NS_24const_host_device_scalarIT0_EES1_PKS1_PKT1_SA_S7_PKT3_PKT4_S5_PT5_21rocsparse_index_base_b
                                        ; -- End function
	.set _ZN9rocsparseL18bsrxmvn_5x5_kernelILj50EfiiDF16_DF16_fEEvT2_20rocsparse_direction_NS_24const_host_device_scalarIT0_EES1_PKS1_PKT1_SA_S7_PKT3_PKT4_S5_PT5_21rocsparse_index_base_b.num_vgpr, 11
	.set _ZN9rocsparseL18bsrxmvn_5x5_kernelILj50EfiiDF16_DF16_fEEvT2_20rocsparse_direction_NS_24const_host_device_scalarIT0_EES1_PKS1_PKT1_SA_S7_PKT3_PKT4_S5_PT5_21rocsparse_index_base_b.num_agpr, 0
	.set _ZN9rocsparseL18bsrxmvn_5x5_kernelILj50EfiiDF16_DF16_fEEvT2_20rocsparse_direction_NS_24const_host_device_scalarIT0_EES1_PKS1_PKT1_SA_S7_PKT3_PKT4_S5_PT5_21rocsparse_index_base_b.numbered_sgpr, 16
	.set _ZN9rocsparseL18bsrxmvn_5x5_kernelILj50EfiiDF16_DF16_fEEvT2_20rocsparse_direction_NS_24const_host_device_scalarIT0_EES1_PKS1_PKT1_SA_S7_PKT3_PKT4_S5_PT5_21rocsparse_index_base_b.num_named_barrier, 0
	.set _ZN9rocsparseL18bsrxmvn_5x5_kernelILj50EfiiDF16_DF16_fEEvT2_20rocsparse_direction_NS_24const_host_device_scalarIT0_EES1_PKS1_PKT1_SA_S7_PKT3_PKT4_S5_PT5_21rocsparse_index_base_b.private_seg_size, 0
	.set _ZN9rocsparseL18bsrxmvn_5x5_kernelILj50EfiiDF16_DF16_fEEvT2_20rocsparse_direction_NS_24const_host_device_scalarIT0_EES1_PKS1_PKT1_SA_S7_PKT3_PKT4_S5_PT5_21rocsparse_index_base_b.uses_vcc, 1
	.set _ZN9rocsparseL18bsrxmvn_5x5_kernelILj50EfiiDF16_DF16_fEEvT2_20rocsparse_direction_NS_24const_host_device_scalarIT0_EES1_PKS1_PKT1_SA_S7_PKT3_PKT4_S5_PT5_21rocsparse_index_base_b.uses_flat_scratch, 0
	.set _ZN9rocsparseL18bsrxmvn_5x5_kernelILj50EfiiDF16_DF16_fEEvT2_20rocsparse_direction_NS_24const_host_device_scalarIT0_EES1_PKS1_PKT1_SA_S7_PKT3_PKT4_S5_PT5_21rocsparse_index_base_b.has_dyn_sized_stack, 0
	.set _ZN9rocsparseL18bsrxmvn_5x5_kernelILj50EfiiDF16_DF16_fEEvT2_20rocsparse_direction_NS_24const_host_device_scalarIT0_EES1_PKS1_PKT1_SA_S7_PKT3_PKT4_S5_PT5_21rocsparse_index_base_b.has_recursion, 0
	.set _ZN9rocsparseL18bsrxmvn_5x5_kernelILj50EfiiDF16_DF16_fEEvT2_20rocsparse_direction_NS_24const_host_device_scalarIT0_EES1_PKS1_PKT1_SA_S7_PKT3_PKT4_S5_PT5_21rocsparse_index_base_b.has_indirect_call, 0
	.section	.AMDGPU.csdata,"",@progbits
; Kernel info:
; codeLenInByte = 1220
; TotalNumSgprs: 18
; NumVgprs: 11
; ScratchSize: 0
; MemoryBound: 0
; FloatMode: 240
; IeeeMode: 1
; LDSByteSize: 200 bytes/workgroup (compile time only)
; SGPRBlocks: 0
; VGPRBlocks: 1
; NumSGPRsForWavesPerEU: 18
; NumVGPRsForWavesPerEU: 11
; Occupancy: 16
; WaveLimiterHint : 1
; COMPUTE_PGM_RSRC2:SCRATCH_EN: 0
; COMPUTE_PGM_RSRC2:USER_SGPR: 6
; COMPUTE_PGM_RSRC2:TRAP_HANDLER: 0
; COMPUTE_PGM_RSRC2:TGID_X_EN: 1
; COMPUTE_PGM_RSRC2:TGID_Y_EN: 0
; COMPUTE_PGM_RSRC2:TGID_Z_EN: 0
; COMPUTE_PGM_RSRC2:TIDIG_COMP_CNT: 0
	.section	.text._ZN9rocsparseL18bsrxmvn_5x5_kernelILj50EfliDF16_DF16_fEEvT2_20rocsparse_direction_NS_24const_host_device_scalarIT0_EES1_PKS1_PKT1_SA_S7_PKT3_PKT4_S5_PT5_21rocsparse_index_base_b,"axG",@progbits,_ZN9rocsparseL18bsrxmvn_5x5_kernelILj50EfliDF16_DF16_fEEvT2_20rocsparse_direction_NS_24const_host_device_scalarIT0_EES1_PKS1_PKT1_SA_S7_PKT3_PKT4_S5_PT5_21rocsparse_index_base_b,comdat
	.globl	_ZN9rocsparseL18bsrxmvn_5x5_kernelILj50EfliDF16_DF16_fEEvT2_20rocsparse_direction_NS_24const_host_device_scalarIT0_EES1_PKS1_PKT1_SA_S7_PKT3_PKT4_S5_PT5_21rocsparse_index_base_b ; -- Begin function _ZN9rocsparseL18bsrxmvn_5x5_kernelILj50EfliDF16_DF16_fEEvT2_20rocsparse_direction_NS_24const_host_device_scalarIT0_EES1_PKS1_PKT1_SA_S7_PKT3_PKT4_S5_PT5_21rocsparse_index_base_b
	.p2align	8
	.type	_ZN9rocsparseL18bsrxmvn_5x5_kernelILj50EfliDF16_DF16_fEEvT2_20rocsparse_direction_NS_24const_host_device_scalarIT0_EES1_PKS1_PKT1_SA_S7_PKT3_PKT4_S5_PT5_21rocsparse_index_base_b,@function
_ZN9rocsparseL18bsrxmvn_5x5_kernelILj50EfliDF16_DF16_fEEvT2_20rocsparse_direction_NS_24const_host_device_scalarIT0_EES1_PKS1_PKT1_SA_S7_PKT3_PKT4_S5_PT5_21rocsparse_index_base_b: ; @_ZN9rocsparseL18bsrxmvn_5x5_kernelILj50EfliDF16_DF16_fEEvT2_20rocsparse_direction_NS_24const_host_device_scalarIT0_EES1_PKS1_PKT1_SA_S7_PKT3_PKT4_S5_PT5_21rocsparse_index_base_b
; %bb.0:
	s_clause 0x2
	s_load_dwordx2 s[12:13], s[4:5], 0x58
	s_load_dwordx2 s[10:11], s[4:5], 0x8
	;; [unrolled: 1-line block ×3, first 2 shown]
	s_waitcnt lgkmcnt(0)
	s_bitcmp1_b32 s13, 0
	s_cselect_b32 s0, -1, 0
	s_and_b32 vcc_lo, exec_lo, s0
	s_xor_b32 s0, s0, -1
	s_cbranch_vccnz .LBB25_2
; %bb.1:
	s_load_dword s10, s[10:11], 0x0
.LBB25_2:
	s_andn2_b32 vcc_lo, exec_lo, s0
	s_cbranch_vccnz .LBB25_4
; %bb.3:
	s_load_dword s8, s[8:9], 0x0
.LBB25_4:
	s_waitcnt lgkmcnt(0)
	v_cmp_neq_f32_e64 s0, s10, 0
	v_cmp_neq_f32_e64 s1, s8, 1.0
	s_or_b32 s0, s0, s1
	s_andn2_b32 vcc_lo, exec_lo, s0
	s_cbranch_vccnz .LBB25_36
; %bb.5:
	s_clause 0x1
	s_load_dwordx4 s[0:3], s[4:5], 0x18
	s_load_dwordx2 s[14:15], s[4:5], 0x28
	s_waitcnt lgkmcnt(0)
	s_cmp_eq_u64 s[0:1], 0
	s_cbranch_scc1 .LBB25_7
; %bb.6:
	s_ashr_i32 s7, s6, 31
	s_lshl_b64 s[6:7], s[6:7], 2
	s_add_u32 s0, s0, s6
	s_addc_u32 s1, s1, s7
	s_load_dword s0, s[0:1], 0x0
	s_waitcnt lgkmcnt(0)
	s_sub_i32 s6, s0, s12
.LBB25_7:
	s_load_dword s1, s[4:5], 0x4
	v_mul_u32_u24_e32 v1, 0x3334, v0
	v_mov_b32_e32 v2, 0
	v_lshrrev_b32_e32 v3, 16, v1
	v_mul_lo_u16 v1, v3, 5
	v_sub_nc_u16 v7, v0, v1
	s_waitcnt lgkmcnt(0)
	s_cmp_eq_u32 s1, 1
	s_cselect_b32 s0, -1, 0
	s_cmp_lg_u32 s1, 1
	s_cselect_b32 s9, -1, 0
	s_ashr_i32 s7, s6, 31
	s_lshl_b64 s[16:17], s[6:7], 3
	s_add_u32 s2, s2, s16
	s_addc_u32 s3, s3, s17
	s_add_u32 s1, s2, 8
	s_addc_u32 s7, s3, 0
	s_add_u32 s11, s14, s16
	s_addc_u32 s13, s15, s17
	s_cmp_eq_u64 s[14:15], 0
	s_cselect_b32 s15, s7, s13
	s_cselect_b32 s14, s1, s11
	s_load_dwordx2 s[16:17], s[2:3], 0x0
	s_load_dwordx2 s[14:15], s[14:15], 0x0
	s_load_dwordx2 s[2:3], s[4:5], 0x50
	s_waitcnt lgkmcnt(0)
	v_cmp_ge_i64_e64 s1, s[16:17], s[14:15]
	s_and_b32 vcc_lo, exec_lo, s1
	s_cbranch_vccnz .LBB25_12
; %bb.8:
	v_mul_lo_u16 v1, v3, 52
	v_mov_b32_e32 v6, 0xa3e
	v_mov_b32_e32 v2, 0
	s_clause 0x1
	s_load_dwordx4 s[20:23], s[4:5], 0x30
	s_load_dwordx2 s[4:5], s[4:5], 0x40
	v_and_b32_e32 v9, 0xffff, v7
	v_lshrrev_b16 v4, 8, v1
	v_lshlrev_b32_e32 v1, 1, v0
	s_mul_i32 s7, s12, 50
	s_mul_hi_u32 s1, s12, 50
	s_sub_u32 s14, s14, s12
	v_mul_lo_u16 v8, v4, 5
	v_mad_u64_u32 v[4:5], null, s16, 50, v[1:2]
	v_mul_u32_u24_sdwa v1, v0, v6 dst_sel:DWORD dst_unused:UNUSED_PAD src0_sel:WORD_0 src1_sel:DWORD
	s_subb_u32 s15, s15, 0
	v_sub_nc_u16 v3, v3, v8
	v_lshrrev_b32_e32 v8, 16, v1
	v_mov_b32_e32 v1, v5
	v_and_b32_e32 v3, 0xff, v3
	v_add_co_u32 v10, s11, s16, v8
	v_add_co_ci_u32_e64 v11, null, s17, 0, s11
	v_mad_u64_u32 v[5:6], null, s17, 50, v[1:2]
	v_cndmask_b32_e64 v1, v9, v3, s0
	v_sub_co_u32 v9, vcc_lo, v10, s12
	v_subrev_co_ci_u32_e64 v10, null, 0, v11, vcc_lo
	v_sub_co_u32 v3, vcc_lo, v4, s7
	v_subrev_co_ci_u32_e64 v4, null, s1, v5, vcc_lo
	v_lshlrev_b64 v[5:6], 2, v[9:10]
	s_waitcnt lgkmcnt(0)
	v_add_co_u32 v3, vcc_lo, s22, v3
	v_add_co_ci_u32_e64 v4, null, s23, v4, vcc_lo
	s_sub_u32 s0, s16, s12
	v_add_co_u32 v5, vcc_lo, s20, v5
	v_add_co_ci_u32_e64 v6, null, s21, v6, vcc_lo
	s_subb_u32 s1, s17, 0
	s_inst_prefetch 0x1
	s_branch .LBB25_10
	.p2align	6
.LBB25_9:                               ;   in Loop: Header=BB25_10 Depth=1
	s_or_b32 exec_lo, exec_lo, s7
	s_add_u32 s0, s0, 2
	s_addc_u32 s1, s1, 0
	v_add_co_u32 v3, vcc_lo, 0x64, v3
	v_cmp_ge_i64_e64 s7, s[0:1], s[14:15]
	v_add_co_ci_u32_e64 v4, null, 0, v4, vcc_lo
	v_add_co_u32 v5, vcc_lo, v5, 8
	v_add_co_ci_u32_e64 v6, null, 0, v6, vcc_lo
	s_and_b32 vcc_lo, exec_lo, s7
	s_cbranch_vccnz .LBB25_12
.LBB25_10:                              ; =>This Inner Loop Header: Depth=1
	v_add_co_u32 v9, s7, v8, s0
	v_add_co_ci_u32_e64 v10, null, 0, s1, s7
	s_mov_b32 s7, exec_lo
	v_cmpx_gt_i64_e64 s[14:15], v[9:10]
	s_cbranch_execz .LBB25_9
; %bb.11:                               ;   in Loop: Header=BB25_10 Depth=1
	global_load_dword v9, v[5:6], off
	s_waitcnt vmcnt(0)
	v_subrev_nc_u32_e32 v9, s12, v9
	v_mad_u64_u32 v[9:10], null, v9, 5, v[1:2]
	v_ashrrev_i32_e32 v10, 31, v9
	v_lshlrev_b64 v[9:10], 1, v[9:10]
	v_add_co_u32 v9, vcc_lo, s4, v9
	v_add_co_ci_u32_e64 v10, null, s5, v10, vcc_lo
	global_load_ushort v11, v[3:4], off
	global_load_ushort v9, v[9:10], off
	s_waitcnt vmcnt(0)
	v_fma_mix_f32 v2, v11, v9, v2 op_sel_hi:[1,1,0]
	s_branch .LBB25_9
.LBB25_12:
	s_inst_prefetch 0x2
	v_lshlrev_b32_e32 v1, 2, v0
	s_and_b32 vcc_lo, exec_lo, s9
	ds_write_b32 v1, v2
	s_waitcnt lgkmcnt(0)
	buffer_gl0_inv
	s_cbranch_vccz .LBB25_22
; %bb.13:
	s_mov_b32 s0, exec_lo
	v_cmpx_gt_u32_e32 25, v0
	s_cbranch_execz .LBB25_15
; %bb.14:
	ds_read2_b32 v[3:4], v1 offset1:25
	s_waitcnt lgkmcnt(0)
	v_add_f32_e32 v3, v4, v3
	ds_write_b32 v1, v3
.LBB25_15:
	s_or_b32 exec_lo, exec_lo, s0
	s_mov_b32 s0, exec_lo
	s_waitcnt lgkmcnt(0)
	buffer_gl0_inv
	v_cmpx_eq_u16_e32 0, v7
	s_cbranch_execz .LBB25_17
; %bb.16:
	ds_read2_b32 v[3:4], v1 offset1:4
	s_waitcnt lgkmcnt(0)
	v_add_f32_e32 v3, v4, v3
	ds_write_b32 v1, v3
.LBB25_17:
	s_or_b32 exec_lo, exec_lo, s0
	s_mov_b32 s0, exec_lo
	s_waitcnt lgkmcnt(0)
	buffer_gl0_inv
	v_cmpx_gt_u16_e32 2, v7
	s_cbranch_execz .LBB25_19
; %bb.18:
	ds_read2_b32 v[3:4], v1 offset1:2
	s_waitcnt lgkmcnt(0)
	v_add_f32_e32 v3, v4, v3
	ds_write_b32 v1, v3
.LBB25_19:
	s_or_b32 exec_lo, exec_lo, s0
	v_mov_b32_e32 v3, v2
	s_mov_b32 s0, exec_lo
	s_waitcnt lgkmcnt(0)
	buffer_gl0_inv
	v_cmpx_gt_u32_e32 5, v0
	s_cbranch_execz .LBB25_21
; %bb.20:
	v_lshl_add_u32 v3, v0, 4, v1
	ds_read2_b32 v[3:4], v3 offset1:1
	s_waitcnt lgkmcnt(0)
	v_add_f32_e32 v3, v3, v4
.LBB25_21:
	s_or_b32 exec_lo, exec_lo, s0
	s_branch .LBB25_32
.LBB25_22:
                                        ; implicit-def: $vgpr3
	s_cbranch_execz .LBB25_32
; %bb.23:
	v_cmp_gt_u32_e32 vcc_lo, 10, v0
	s_and_saveexec_b32 s0, vcc_lo
	s_cbranch_execz .LBB25_25
; %bb.24:
	ds_read2_b32 v[3:4], v1 offset1:40
	s_waitcnt lgkmcnt(0)
	v_add_f32_e32 v3, v4, v3
	ds_write_b32 v1, v3
.LBB25_25:
	s_or_b32 exec_lo, exec_lo, s0
	s_mov_b32 s1, exec_lo
	s_waitcnt lgkmcnt(0)
	buffer_gl0_inv
	v_cmpx_gt_u32_e32 20, v0
	s_cbranch_execz .LBB25_27
; %bb.26:
	ds_read2_b32 v[3:4], v1 offset1:20
	s_waitcnt lgkmcnt(0)
	v_add_f32_e32 v3, v4, v3
	ds_write_b32 v1, v3
.LBB25_27:
	s_or_b32 exec_lo, exec_lo, s1
	s_waitcnt lgkmcnt(0)
	buffer_gl0_inv
	s_and_saveexec_b32 s0, vcc_lo
	s_cbranch_execz .LBB25_29
; %bb.28:
	ds_read2_b32 v[3:4], v1 offset1:10
	s_waitcnt lgkmcnt(0)
	v_add_f32_e32 v3, v4, v3
	ds_write_b32 v1, v3
.LBB25_29:
	s_or_b32 exec_lo, exec_lo, s0
	s_mov_b32 s0, exec_lo
	s_waitcnt lgkmcnt(0)
	buffer_gl0_inv
	v_cmpx_gt_u32_e32 5, v0
	s_cbranch_execz .LBB25_31
; %bb.30:
	ds_read2_b32 v[1:2], v1 offset1:5
	s_waitcnt lgkmcnt(0)
	v_add_f32_e32 v2, v1, v2
.LBB25_31:
	s_or_b32 exec_lo, exec_lo, s0
	v_mov_b32_e32 v3, v2
.LBB25_32:
	s_mov_b32 s0, exec_lo
	v_cmpx_gt_u32_e32 5, v0
	s_cbranch_execz .LBB25_36
; %bb.33:
	v_cmp_eq_f32_e64 s0, s8, 0
	v_mul_f32_e32 v1, s10, v3
	s_and_b32 vcc_lo, exec_lo, s0
	s_mov_b32 s0, 0
	s_cbranch_vccz .LBB25_37
; %bb.34:
	v_mad_u64_u32 v[2:3], null, s6, 5, v[0:1]
	v_mov_b32_e32 v3, 0
	v_lshlrev_b64 v[2:3], 2, v[2:3]
	v_add_co_u32 v2, vcc_lo, s2, v2
	v_add_co_ci_u32_e64 v3, null, s3, v3, vcc_lo
	global_store_dword v[2:3], v1, off
	s_andn2_b32 vcc_lo, exec_lo, s0
	s_cbranch_vccnz .LBB25_36
.LBB25_35:
	v_mad_u64_u32 v[2:3], null, s6, 5, v[0:1]
	v_mov_b32_e32 v3, 0
	v_lshlrev_b64 v[2:3], 2, v[2:3]
	v_add_co_u32 v2, vcc_lo, s2, v2
	v_add_co_ci_u32_e64 v3, null, s3, v3, vcc_lo
	global_load_dword v0, v[2:3], off
	s_waitcnt vmcnt(0)
	v_fmac_f32_e32 v1, s8, v0
	global_store_dword v[2:3], v1, off
.LBB25_36:
	s_endpgm
.LBB25_37:
	s_branch .LBB25_35
	.section	.rodata,"a",@progbits
	.p2align	6, 0x0
	.amdhsa_kernel _ZN9rocsparseL18bsrxmvn_5x5_kernelILj50EfliDF16_DF16_fEEvT2_20rocsparse_direction_NS_24const_host_device_scalarIT0_EES1_PKS1_PKT1_SA_S7_PKT3_PKT4_S5_PT5_21rocsparse_index_base_b
		.amdhsa_group_segment_fixed_size 200
		.amdhsa_private_segment_fixed_size 0
		.amdhsa_kernarg_size 96
		.amdhsa_user_sgpr_count 6
		.amdhsa_user_sgpr_private_segment_buffer 1
		.amdhsa_user_sgpr_dispatch_ptr 0
		.amdhsa_user_sgpr_queue_ptr 0
		.amdhsa_user_sgpr_kernarg_segment_ptr 1
		.amdhsa_user_sgpr_dispatch_id 0
		.amdhsa_user_sgpr_flat_scratch_init 0
		.amdhsa_user_sgpr_private_segment_size 0
		.amdhsa_wavefront_size32 1
		.amdhsa_uses_dynamic_stack 0
		.amdhsa_system_sgpr_private_segment_wavefront_offset 0
		.amdhsa_system_sgpr_workgroup_id_x 1
		.amdhsa_system_sgpr_workgroup_id_y 0
		.amdhsa_system_sgpr_workgroup_id_z 0
		.amdhsa_system_sgpr_workgroup_info 0
		.amdhsa_system_vgpr_workitem_id 0
		.amdhsa_next_free_vgpr 12
		.amdhsa_next_free_sgpr 24
		.amdhsa_reserve_vcc 1
		.amdhsa_reserve_flat_scratch 0
		.amdhsa_float_round_mode_32 0
		.amdhsa_float_round_mode_16_64 0
		.amdhsa_float_denorm_mode_32 3
		.amdhsa_float_denorm_mode_16_64 3
		.amdhsa_dx10_clamp 1
		.amdhsa_ieee_mode 1
		.amdhsa_fp16_overflow 0
		.amdhsa_workgroup_processor_mode 1
		.amdhsa_memory_ordered 1
		.amdhsa_forward_progress 1
		.amdhsa_shared_vgpr_count 0
		.amdhsa_exception_fp_ieee_invalid_op 0
		.amdhsa_exception_fp_denorm_src 0
		.amdhsa_exception_fp_ieee_div_zero 0
		.amdhsa_exception_fp_ieee_overflow 0
		.amdhsa_exception_fp_ieee_underflow 0
		.amdhsa_exception_fp_ieee_inexact 0
		.amdhsa_exception_int_div_zero 0
	.end_amdhsa_kernel
	.section	.text._ZN9rocsparseL18bsrxmvn_5x5_kernelILj50EfliDF16_DF16_fEEvT2_20rocsparse_direction_NS_24const_host_device_scalarIT0_EES1_PKS1_PKT1_SA_S7_PKT3_PKT4_S5_PT5_21rocsparse_index_base_b,"axG",@progbits,_ZN9rocsparseL18bsrxmvn_5x5_kernelILj50EfliDF16_DF16_fEEvT2_20rocsparse_direction_NS_24const_host_device_scalarIT0_EES1_PKS1_PKT1_SA_S7_PKT3_PKT4_S5_PT5_21rocsparse_index_base_b,comdat
.Lfunc_end25:
	.size	_ZN9rocsparseL18bsrxmvn_5x5_kernelILj50EfliDF16_DF16_fEEvT2_20rocsparse_direction_NS_24const_host_device_scalarIT0_EES1_PKS1_PKT1_SA_S7_PKT3_PKT4_S5_PT5_21rocsparse_index_base_b, .Lfunc_end25-_ZN9rocsparseL18bsrxmvn_5x5_kernelILj50EfliDF16_DF16_fEEvT2_20rocsparse_direction_NS_24const_host_device_scalarIT0_EES1_PKS1_PKT1_SA_S7_PKT3_PKT4_S5_PT5_21rocsparse_index_base_b
                                        ; -- End function
	.set _ZN9rocsparseL18bsrxmvn_5x5_kernelILj50EfliDF16_DF16_fEEvT2_20rocsparse_direction_NS_24const_host_device_scalarIT0_EES1_PKS1_PKT1_SA_S7_PKT3_PKT4_S5_PT5_21rocsparse_index_base_b.num_vgpr, 12
	.set _ZN9rocsparseL18bsrxmvn_5x5_kernelILj50EfliDF16_DF16_fEEvT2_20rocsparse_direction_NS_24const_host_device_scalarIT0_EES1_PKS1_PKT1_SA_S7_PKT3_PKT4_S5_PT5_21rocsparse_index_base_b.num_agpr, 0
	.set _ZN9rocsparseL18bsrxmvn_5x5_kernelILj50EfliDF16_DF16_fEEvT2_20rocsparse_direction_NS_24const_host_device_scalarIT0_EES1_PKS1_PKT1_SA_S7_PKT3_PKT4_S5_PT5_21rocsparse_index_base_b.numbered_sgpr, 24
	.set _ZN9rocsparseL18bsrxmvn_5x5_kernelILj50EfliDF16_DF16_fEEvT2_20rocsparse_direction_NS_24const_host_device_scalarIT0_EES1_PKS1_PKT1_SA_S7_PKT3_PKT4_S5_PT5_21rocsparse_index_base_b.num_named_barrier, 0
	.set _ZN9rocsparseL18bsrxmvn_5x5_kernelILj50EfliDF16_DF16_fEEvT2_20rocsparse_direction_NS_24const_host_device_scalarIT0_EES1_PKS1_PKT1_SA_S7_PKT3_PKT4_S5_PT5_21rocsparse_index_base_b.private_seg_size, 0
	.set _ZN9rocsparseL18bsrxmvn_5x5_kernelILj50EfliDF16_DF16_fEEvT2_20rocsparse_direction_NS_24const_host_device_scalarIT0_EES1_PKS1_PKT1_SA_S7_PKT3_PKT4_S5_PT5_21rocsparse_index_base_b.uses_vcc, 1
	.set _ZN9rocsparseL18bsrxmvn_5x5_kernelILj50EfliDF16_DF16_fEEvT2_20rocsparse_direction_NS_24const_host_device_scalarIT0_EES1_PKS1_PKT1_SA_S7_PKT3_PKT4_S5_PT5_21rocsparse_index_base_b.uses_flat_scratch, 0
	.set _ZN9rocsparseL18bsrxmvn_5x5_kernelILj50EfliDF16_DF16_fEEvT2_20rocsparse_direction_NS_24const_host_device_scalarIT0_EES1_PKS1_PKT1_SA_S7_PKT3_PKT4_S5_PT5_21rocsparse_index_base_b.has_dyn_sized_stack, 0
	.set _ZN9rocsparseL18bsrxmvn_5x5_kernelILj50EfliDF16_DF16_fEEvT2_20rocsparse_direction_NS_24const_host_device_scalarIT0_EES1_PKS1_PKT1_SA_S7_PKT3_PKT4_S5_PT5_21rocsparse_index_base_b.has_recursion, 0
	.set _ZN9rocsparseL18bsrxmvn_5x5_kernelILj50EfliDF16_DF16_fEEvT2_20rocsparse_direction_NS_24const_host_device_scalarIT0_EES1_PKS1_PKT1_SA_S7_PKT3_PKT4_S5_PT5_21rocsparse_index_base_b.has_indirect_call, 0
	.section	.AMDGPU.csdata,"",@progbits
; Kernel info:
; codeLenInByte = 1344
; TotalNumSgprs: 26
; NumVgprs: 12
; ScratchSize: 0
; MemoryBound: 0
; FloatMode: 240
; IeeeMode: 1
; LDSByteSize: 200 bytes/workgroup (compile time only)
; SGPRBlocks: 0
; VGPRBlocks: 1
; NumSGPRsForWavesPerEU: 26
; NumVGPRsForWavesPerEU: 12
; Occupancy: 16
; WaveLimiterHint : 1
; COMPUTE_PGM_RSRC2:SCRATCH_EN: 0
; COMPUTE_PGM_RSRC2:USER_SGPR: 6
; COMPUTE_PGM_RSRC2:TRAP_HANDLER: 0
; COMPUTE_PGM_RSRC2:TGID_X_EN: 1
; COMPUTE_PGM_RSRC2:TGID_Y_EN: 0
; COMPUTE_PGM_RSRC2:TGID_Z_EN: 0
; COMPUTE_PGM_RSRC2:TIDIG_COMP_CNT: 0
	.section	.text._ZN9rocsparseL18bsrxmvn_5x5_kernelILj50EfllDF16_DF16_fEEvT2_20rocsparse_direction_NS_24const_host_device_scalarIT0_EES1_PKS1_PKT1_SA_S7_PKT3_PKT4_S5_PT5_21rocsparse_index_base_b,"axG",@progbits,_ZN9rocsparseL18bsrxmvn_5x5_kernelILj50EfllDF16_DF16_fEEvT2_20rocsparse_direction_NS_24const_host_device_scalarIT0_EES1_PKS1_PKT1_SA_S7_PKT3_PKT4_S5_PT5_21rocsparse_index_base_b,comdat
	.globl	_ZN9rocsparseL18bsrxmvn_5x5_kernelILj50EfllDF16_DF16_fEEvT2_20rocsparse_direction_NS_24const_host_device_scalarIT0_EES1_PKS1_PKT1_SA_S7_PKT3_PKT4_S5_PT5_21rocsparse_index_base_b ; -- Begin function _ZN9rocsparseL18bsrxmvn_5x5_kernelILj50EfllDF16_DF16_fEEvT2_20rocsparse_direction_NS_24const_host_device_scalarIT0_EES1_PKS1_PKT1_SA_S7_PKT3_PKT4_S5_PT5_21rocsparse_index_base_b
	.p2align	8
	.type	_ZN9rocsparseL18bsrxmvn_5x5_kernelILj50EfllDF16_DF16_fEEvT2_20rocsparse_direction_NS_24const_host_device_scalarIT0_EES1_PKS1_PKT1_SA_S7_PKT3_PKT4_S5_PT5_21rocsparse_index_base_b,@function
_ZN9rocsparseL18bsrxmvn_5x5_kernelILj50EfllDF16_DF16_fEEvT2_20rocsparse_direction_NS_24const_host_device_scalarIT0_EES1_PKS1_PKT1_SA_S7_PKT3_PKT4_S5_PT5_21rocsparse_index_base_b: ; @_ZN9rocsparseL18bsrxmvn_5x5_kernelILj50EfllDF16_DF16_fEEvT2_20rocsparse_direction_NS_24const_host_device_scalarIT0_EES1_PKS1_PKT1_SA_S7_PKT3_PKT4_S5_PT5_21rocsparse_index_base_b
; %bb.0:
	s_clause 0x2
	s_load_dwordx2 s[12:13], s[4:5], 0x60
	s_load_dwordx2 s[10:11], s[4:5], 0x10
	;; [unrolled: 1-line block ×3, first 2 shown]
	s_waitcnt lgkmcnt(0)
	s_bitcmp1_b32 s13, 0
	s_cselect_b32 s0, -1, 0
	s_and_b32 vcc_lo, exec_lo, s0
	s_xor_b32 s0, s0, -1
	s_cbranch_vccnz .LBB26_2
; %bb.1:
	s_load_dword s10, s[10:11], 0x0
.LBB26_2:
	s_andn2_b32 vcc_lo, exec_lo, s0
	s_cbranch_vccnz .LBB26_4
; %bb.3:
	s_load_dword s8, s[8:9], 0x0
.LBB26_4:
	s_waitcnt lgkmcnt(0)
	v_cmp_neq_f32_e64 s0, s10, 0
	v_cmp_neq_f32_e64 s1, s8, 1.0
	s_mov_b32 s7, 0
	s_or_b32 s0, s0, s1
	s_andn2_b32 vcc_lo, exec_lo, s0
	s_cbranch_vccnz .LBB26_39
; %bb.5:
	s_clause 0x1
	s_load_dwordx4 s[0:3], s[4:5], 0x20
	s_load_dwordx2 s[14:15], s[4:5], 0x30
	s_waitcnt lgkmcnt(0)
	s_cmp_eq_u64 s[0:1], 0
	s_cbranch_scc1 .LBB26_7
; %bb.6:
	s_lshl_b64 s[6:7], s[6:7], 3
	s_add_u32 s0, s0, s6
	s_addc_u32 s1, s1, s7
	s_load_dwordx2 s[0:1], s[0:1], 0x0
	s_waitcnt lgkmcnt(0)
	s_sub_u32 s6, s0, s12
	s_subb_u32 s7, s1, 0
.LBB26_7:
	s_load_dword s1, s[4:5], 0x8
	v_mul_u32_u24_e32 v1, 0x3334, v0
	v_lshrrev_b32_e32 v2, 16, v1
	v_mul_lo_u16 v3, v2, 5
	s_waitcnt lgkmcnt(0)
	s_cmp_eq_u32 s1, 1
	s_cselect_b32 s0, -1, 0
	s_cmp_lg_u32 s1, 1
	s_cselect_b32 s9, -1, 0
	s_lshl_b64 s[16:17], s[6:7], 3
	s_add_u32 s2, s2, s16
	s_addc_u32 s3, s3, s17
	s_add_u32 s1, s2, 8
	s_addc_u32 s11, s3, 0
	;; [unrolled: 2-line block ×3, first 2 shown]
	s_cmp_eq_u64 s[14:15], 0
	s_cselect_b32 s17, s11, s16
	s_cselect_b32 s16, s1, s13
	s_load_dwordx2 s[14:15], s[2:3], 0x0
	s_load_dwordx2 s[16:17], s[16:17], 0x0
	s_waitcnt lgkmcnt(0)
	v_cmp_lt_i64_e64 s1, s[14:15], s[16:17]
	s_and_b32 vcc_lo, exec_lo, s1
	s_cbranch_vccnz .LBB26_9
; %bb.8:
	v_mov_b32_e32 v1, 0
	s_mov_b32 s1, 0
	s_branch .LBB26_10
.LBB26_9:
	s_mov_b32 s1, -1
.LBB26_10:
	s_load_dwordx2 s[2:3], s[4:5], 0x58
	v_sub_nc_u16 v9, v0, v3
	v_mov_b32_e32 v8, 0
	s_andn2_b32 vcc_lo, exec_lo, s1
	s_cbranch_vccnz .LBB26_15
; %bb.11:
	v_mul_lo_u16 v1, v2, 52
	v_mov_b32_e32 v3, 0xa3e
	v_and_b32_e32 v6, 0xffff, v9
	s_clause 0x1
	s_load_dwordx4 s[20:23], s[4:5], 0x38
	s_load_dwordx2 s[18:19], s[4:5], 0x48
	s_mul_i32 s5, s12, 50
	v_lshrrev_b16 v1, 8, v1
	v_mul_u32_u24_sdwa v5, v0, v3 dst_sel:DWORD dst_unused:UNUSED_PAD src0_sel:WORD_0 src1_sel:DWORD
	s_mul_hi_u32 s1, s12, 50
	s_sub_u32 s4, s16, s12
	v_mul_lo_u16 v4, v1, 5
	v_mov_b32_e32 v1, 0
	v_lshrrev_b32_e32 v10, 16, v5
	v_sub_nc_u16 v4, v2, v4
	v_lshlrev_b32_e32 v2, 1, v0
	v_mov_b32_e32 v3, v1
	v_and_b32_e32 v7, 0xff, v4
	v_mad_u64_u32 v[4:5], null, s14, 50, v[2:3]
	v_cndmask_b32_e64 v3, v6, v7, s0
	v_add_co_u32 v6, s0, s14, v10
	v_add_co_ci_u32_e64 v7, null, s15, 0, s0
	v_mov_b32_e32 v2, v5
	v_lshlrev_b32_e32 v3, 1, v3
	v_sub_co_u32 v5, vcc_lo, v6, s12
	v_subrev_co_ci_u32_e64 v6, null, 0, v7, vcc_lo
	v_mad_u64_u32 v[7:8], null, s15, 50, v[2:3]
	v_sub_co_u32 v4, vcc_lo, v4, s5
	s_waitcnt lgkmcnt(0)
	v_add_co_u32 v2, s0, s18, v3
	v_add_co_ci_u32_e64 v3, null, s19, 0, s0
	v_subrev_co_ci_u32_e64 v8, null, s1, v7, vcc_lo
	v_lshlrev_b64 v[6:7], 3, v[5:6]
	v_add_co_u32 v4, vcc_lo, s22, v4
	v_add_co_ci_u32_e64 v5, null, s23, v8, vcc_lo
	v_mov_b32_e32 v8, v1
	v_add_co_u32 v6, vcc_lo, s20, v6
	v_add_co_ci_u32_e64 v7, null, s21, v7, vcc_lo
	s_subb_u32 s5, s17, 0
	s_sub_u32 s0, s14, s12
	s_subb_u32 s1, s15, 0
	s_inst_prefetch 0x1
	s_branch .LBB26_13
	.p2align	6
.LBB26_12:                              ;   in Loop: Header=BB26_13 Depth=1
	s_or_b32 exec_lo, exec_lo, s11
	s_add_u32 s0, s0, 2
	s_addc_u32 s1, s1, 0
	v_add_co_u32 v4, vcc_lo, 0x64, v4
	v_cmp_ge_i64_e64 s11, s[0:1], s[4:5]
	v_add_co_ci_u32_e64 v5, null, 0, v5, vcc_lo
	v_add_co_u32 v6, vcc_lo, v6, 16
	v_add_co_ci_u32_e64 v7, null, 0, v7, vcc_lo
	s_and_b32 vcc_lo, exec_lo, s11
	s_cbranch_vccnz .LBB26_15
.LBB26_13:                              ; =>This Inner Loop Header: Depth=1
	v_add_co_u32 v11, s11, v10, s0
	v_add_co_ci_u32_e64 v12, null, 0, s1, s11
	s_mov_b32 s11, exec_lo
	v_cmpx_gt_i64_e64 s[4:5], v[11:12]
	s_cbranch_execz .LBB26_12
; %bb.14:                               ;   in Loop: Header=BB26_13 Depth=1
	global_load_dwordx2 v[11:12], v[6:7], off
	s_waitcnt vmcnt(0)
	v_sub_co_u32 v11, vcc_lo, v11, s12
	v_subrev_co_ci_u32_e64 v13, null, 0, v12, vcc_lo
	v_mad_u64_u32 v[11:12], null, v11, 10, v[2:3]
	v_mad_u64_u32 v[12:13], null, v13, 10, v[12:13]
	global_load_ushort v13, v[4:5], off
	global_load_ushort v11, v[11:12], off
	s_waitcnt vmcnt(0)
	v_fma_mix_f32 v8, v13, v11, v8 op_sel_hi:[1,1,0]
	s_branch .LBB26_12
.LBB26_15:
	s_inst_prefetch 0x2
	v_lshlrev_b32_e32 v2, 2, v0
	s_and_b32 vcc_lo, exec_lo, s9
	ds_write_b32 v2, v8
	s_waitcnt lgkmcnt(0)
	buffer_gl0_inv
	s_cbranch_vccz .LBB26_25
; %bb.16:
	s_mov_b32 s0, exec_lo
	v_cmpx_gt_u32_e32 25, v0
	s_cbranch_execz .LBB26_18
; %bb.17:
	ds_read2_b32 v[3:4], v2 offset1:25
	s_waitcnt lgkmcnt(0)
	v_add_f32_e32 v3, v4, v3
	ds_write_b32 v2, v3
.LBB26_18:
	s_or_b32 exec_lo, exec_lo, s0
	s_mov_b32 s0, exec_lo
	s_waitcnt lgkmcnt(0)
	buffer_gl0_inv
	v_cmpx_eq_u16_e32 0, v9
	s_cbranch_execz .LBB26_20
; %bb.19:
	ds_read2_b32 v[3:4], v2 offset1:4
	s_waitcnt lgkmcnt(0)
	v_add_f32_e32 v3, v4, v3
	ds_write_b32 v2, v3
.LBB26_20:
	s_or_b32 exec_lo, exec_lo, s0
	s_mov_b32 s0, exec_lo
	s_waitcnt lgkmcnt(0)
	buffer_gl0_inv
	v_cmpx_gt_u16_e32 2, v9
	s_cbranch_execz .LBB26_22
; %bb.21:
	ds_read2_b32 v[3:4], v2 offset1:2
	s_waitcnt lgkmcnt(0)
	v_add_f32_e32 v3, v4, v3
	ds_write_b32 v2, v3
.LBB26_22:
	s_or_b32 exec_lo, exec_lo, s0
	v_mov_b32_e32 v3, v8
	s_mov_b32 s0, exec_lo
	s_waitcnt lgkmcnt(0)
	buffer_gl0_inv
	v_cmpx_gt_u32_e32 5, v0
	s_cbranch_execz .LBB26_24
; %bb.23:
	v_lshl_add_u32 v3, v0, 4, v2
	ds_read2_b32 v[3:4], v3 offset1:1
	s_waitcnt lgkmcnt(0)
	v_add_f32_e32 v3, v3, v4
.LBB26_24:
	s_or_b32 exec_lo, exec_lo, s0
	s_branch .LBB26_35
.LBB26_25:
                                        ; implicit-def: $vgpr3
	s_cbranch_execz .LBB26_35
; %bb.26:
	v_cmp_gt_u32_e32 vcc_lo, 10, v0
	s_and_saveexec_b32 s0, vcc_lo
	s_cbranch_execz .LBB26_28
; %bb.27:
	ds_read2_b32 v[3:4], v2 offset1:40
	s_waitcnt lgkmcnt(0)
	v_add_f32_e32 v3, v4, v3
	ds_write_b32 v2, v3
.LBB26_28:
	s_or_b32 exec_lo, exec_lo, s0
	s_mov_b32 s1, exec_lo
	s_waitcnt lgkmcnt(0)
	buffer_gl0_inv
	v_cmpx_gt_u32_e32 20, v0
	s_cbranch_execz .LBB26_30
; %bb.29:
	ds_read2_b32 v[3:4], v2 offset1:20
	s_waitcnt lgkmcnt(0)
	v_add_f32_e32 v3, v4, v3
	ds_write_b32 v2, v3
.LBB26_30:
	s_or_b32 exec_lo, exec_lo, s1
	s_waitcnt lgkmcnt(0)
	buffer_gl0_inv
	s_and_saveexec_b32 s0, vcc_lo
	s_cbranch_execz .LBB26_32
; %bb.31:
	ds_read2_b32 v[3:4], v2 offset1:10
	s_waitcnt lgkmcnt(0)
	v_add_f32_e32 v3, v4, v3
	ds_write_b32 v2, v3
.LBB26_32:
	s_or_b32 exec_lo, exec_lo, s0
	s_mov_b32 s0, exec_lo
	s_waitcnt lgkmcnt(0)
	buffer_gl0_inv
	v_cmpx_gt_u32_e32 5, v0
	s_cbranch_execz .LBB26_34
; %bb.33:
	ds_read2_b32 v[2:3], v2 offset1:5
	s_waitcnt lgkmcnt(0)
	v_add_f32_e32 v8, v2, v3
.LBB26_34:
	s_or_b32 exec_lo, exec_lo, s0
	v_mov_b32_e32 v3, v8
.LBB26_35:
	s_mov_b32 s0, exec_lo
	v_cmpx_gt_u32_e32 5, v0
	s_cbranch_execz .LBB26_39
; %bb.36:
	v_cmp_eq_f32_e64 s4, s8, 0
	v_lshlrev_b64 v[0:1], 2, v[0:1]
	v_mul_f32_e32 v2, s10, v3
	s_mov_b32 s1, 0
	s_mul_i32 s0, s7, 20
	s_and_b32 vcc_lo, exec_lo, s4
	s_mul_hi_u32 s4, s6, 20
	s_mul_i32 s5, s6, 20
	s_cbranch_vccz .LBB26_40
; %bb.37:
	s_add_i32 s6, s4, s0
	s_add_u32 s7, s2, s5
	s_addc_u32 s6, s3, s6
	v_add_co_u32 v3, vcc_lo, s7, v0
	v_add_co_ci_u32_e64 v4, null, s6, v1, vcc_lo
	global_store_dword v[3:4], v2, off
	s_andn2_b32 vcc_lo, exec_lo, s1
	s_cbranch_vccnz .LBB26_39
.LBB26_38:
	s_add_i32 s4, s4, s0
	s_add_u32 s0, s2, s5
	s_addc_u32 s1, s3, s4
	v_add_co_u32 v0, vcc_lo, s0, v0
	v_add_co_ci_u32_e64 v1, null, s1, v1, vcc_lo
	global_load_dword v3, v[0:1], off
	s_waitcnt vmcnt(0)
	v_fmac_f32_e32 v2, s8, v3
	global_store_dword v[0:1], v2, off
.LBB26_39:
	s_endpgm
.LBB26_40:
	s_branch .LBB26_38
	.section	.rodata,"a",@progbits
	.p2align	6, 0x0
	.amdhsa_kernel _ZN9rocsparseL18bsrxmvn_5x5_kernelILj50EfllDF16_DF16_fEEvT2_20rocsparse_direction_NS_24const_host_device_scalarIT0_EES1_PKS1_PKT1_SA_S7_PKT3_PKT4_S5_PT5_21rocsparse_index_base_b
		.amdhsa_group_segment_fixed_size 200
		.amdhsa_private_segment_fixed_size 0
		.amdhsa_kernarg_size 104
		.amdhsa_user_sgpr_count 6
		.amdhsa_user_sgpr_private_segment_buffer 1
		.amdhsa_user_sgpr_dispatch_ptr 0
		.amdhsa_user_sgpr_queue_ptr 0
		.amdhsa_user_sgpr_kernarg_segment_ptr 1
		.amdhsa_user_sgpr_dispatch_id 0
		.amdhsa_user_sgpr_flat_scratch_init 0
		.amdhsa_user_sgpr_private_segment_size 0
		.amdhsa_wavefront_size32 1
		.amdhsa_uses_dynamic_stack 0
		.amdhsa_system_sgpr_private_segment_wavefront_offset 0
		.amdhsa_system_sgpr_workgroup_id_x 1
		.amdhsa_system_sgpr_workgroup_id_y 0
		.amdhsa_system_sgpr_workgroup_id_z 0
		.amdhsa_system_sgpr_workgroup_info 0
		.amdhsa_system_vgpr_workitem_id 0
		.amdhsa_next_free_vgpr 14
		.amdhsa_next_free_sgpr 24
		.amdhsa_reserve_vcc 1
		.amdhsa_reserve_flat_scratch 0
		.amdhsa_float_round_mode_32 0
		.amdhsa_float_round_mode_16_64 0
		.amdhsa_float_denorm_mode_32 3
		.amdhsa_float_denorm_mode_16_64 3
		.amdhsa_dx10_clamp 1
		.amdhsa_ieee_mode 1
		.amdhsa_fp16_overflow 0
		.amdhsa_workgroup_processor_mode 1
		.amdhsa_memory_ordered 1
		.amdhsa_forward_progress 1
		.amdhsa_shared_vgpr_count 0
		.amdhsa_exception_fp_ieee_invalid_op 0
		.amdhsa_exception_fp_denorm_src 0
		.amdhsa_exception_fp_ieee_div_zero 0
		.amdhsa_exception_fp_ieee_overflow 0
		.amdhsa_exception_fp_ieee_underflow 0
		.amdhsa_exception_fp_ieee_inexact 0
		.amdhsa_exception_int_div_zero 0
	.end_amdhsa_kernel
	.section	.text._ZN9rocsparseL18bsrxmvn_5x5_kernelILj50EfllDF16_DF16_fEEvT2_20rocsparse_direction_NS_24const_host_device_scalarIT0_EES1_PKS1_PKT1_SA_S7_PKT3_PKT4_S5_PT5_21rocsparse_index_base_b,"axG",@progbits,_ZN9rocsparseL18bsrxmvn_5x5_kernelILj50EfllDF16_DF16_fEEvT2_20rocsparse_direction_NS_24const_host_device_scalarIT0_EES1_PKS1_PKT1_SA_S7_PKT3_PKT4_S5_PT5_21rocsparse_index_base_b,comdat
.Lfunc_end26:
	.size	_ZN9rocsparseL18bsrxmvn_5x5_kernelILj50EfllDF16_DF16_fEEvT2_20rocsparse_direction_NS_24const_host_device_scalarIT0_EES1_PKS1_PKT1_SA_S7_PKT3_PKT4_S5_PT5_21rocsparse_index_base_b, .Lfunc_end26-_ZN9rocsparseL18bsrxmvn_5x5_kernelILj50EfllDF16_DF16_fEEvT2_20rocsparse_direction_NS_24const_host_device_scalarIT0_EES1_PKS1_PKT1_SA_S7_PKT3_PKT4_S5_PT5_21rocsparse_index_base_b
                                        ; -- End function
	.set _ZN9rocsparseL18bsrxmvn_5x5_kernelILj50EfllDF16_DF16_fEEvT2_20rocsparse_direction_NS_24const_host_device_scalarIT0_EES1_PKS1_PKT1_SA_S7_PKT3_PKT4_S5_PT5_21rocsparse_index_base_b.num_vgpr, 14
	.set _ZN9rocsparseL18bsrxmvn_5x5_kernelILj50EfllDF16_DF16_fEEvT2_20rocsparse_direction_NS_24const_host_device_scalarIT0_EES1_PKS1_PKT1_SA_S7_PKT3_PKT4_S5_PT5_21rocsparse_index_base_b.num_agpr, 0
	.set _ZN9rocsparseL18bsrxmvn_5x5_kernelILj50EfllDF16_DF16_fEEvT2_20rocsparse_direction_NS_24const_host_device_scalarIT0_EES1_PKS1_PKT1_SA_S7_PKT3_PKT4_S5_PT5_21rocsparse_index_base_b.numbered_sgpr, 24
	.set _ZN9rocsparseL18bsrxmvn_5x5_kernelILj50EfllDF16_DF16_fEEvT2_20rocsparse_direction_NS_24const_host_device_scalarIT0_EES1_PKS1_PKT1_SA_S7_PKT3_PKT4_S5_PT5_21rocsparse_index_base_b.num_named_barrier, 0
	.set _ZN9rocsparseL18bsrxmvn_5x5_kernelILj50EfllDF16_DF16_fEEvT2_20rocsparse_direction_NS_24const_host_device_scalarIT0_EES1_PKS1_PKT1_SA_S7_PKT3_PKT4_S5_PT5_21rocsparse_index_base_b.private_seg_size, 0
	.set _ZN9rocsparseL18bsrxmvn_5x5_kernelILj50EfllDF16_DF16_fEEvT2_20rocsparse_direction_NS_24const_host_device_scalarIT0_EES1_PKS1_PKT1_SA_S7_PKT3_PKT4_S5_PT5_21rocsparse_index_base_b.uses_vcc, 1
	.set _ZN9rocsparseL18bsrxmvn_5x5_kernelILj50EfllDF16_DF16_fEEvT2_20rocsparse_direction_NS_24const_host_device_scalarIT0_EES1_PKS1_PKT1_SA_S7_PKT3_PKT4_S5_PT5_21rocsparse_index_base_b.uses_flat_scratch, 0
	.set _ZN9rocsparseL18bsrxmvn_5x5_kernelILj50EfllDF16_DF16_fEEvT2_20rocsparse_direction_NS_24const_host_device_scalarIT0_EES1_PKS1_PKT1_SA_S7_PKT3_PKT4_S5_PT5_21rocsparse_index_base_b.has_dyn_sized_stack, 0
	.set _ZN9rocsparseL18bsrxmvn_5x5_kernelILj50EfllDF16_DF16_fEEvT2_20rocsparse_direction_NS_24const_host_device_scalarIT0_EES1_PKS1_PKT1_SA_S7_PKT3_PKT4_S5_PT5_21rocsparse_index_base_b.has_recursion, 0
	.set _ZN9rocsparseL18bsrxmvn_5x5_kernelILj50EfllDF16_DF16_fEEvT2_20rocsparse_direction_NS_24const_host_device_scalarIT0_EES1_PKS1_PKT1_SA_S7_PKT3_PKT4_S5_PT5_21rocsparse_index_base_b.has_indirect_call, 0
	.section	.AMDGPU.csdata,"",@progbits
; Kernel info:
; codeLenInByte = 1404
; TotalNumSgprs: 26
; NumVgprs: 14
; ScratchSize: 0
; MemoryBound: 0
; FloatMode: 240
; IeeeMode: 1
; LDSByteSize: 200 bytes/workgroup (compile time only)
; SGPRBlocks: 0
; VGPRBlocks: 1
; NumSGPRsForWavesPerEU: 26
; NumVGPRsForWavesPerEU: 14
; Occupancy: 16
; WaveLimiterHint : 1
; COMPUTE_PGM_RSRC2:SCRATCH_EN: 0
; COMPUTE_PGM_RSRC2:USER_SGPR: 6
; COMPUTE_PGM_RSRC2:TRAP_HANDLER: 0
; COMPUTE_PGM_RSRC2:TGID_X_EN: 1
; COMPUTE_PGM_RSRC2:TGID_Y_EN: 0
; COMPUTE_PGM_RSRC2:TGID_Z_EN: 0
; COMPUTE_PGM_RSRC2:TIDIG_COMP_CNT: 0
	.section	.text._ZN9rocsparseL18bsrxmvn_5x5_kernelILj50Efii18rocsparse_bfloat16S1_fEEvT2_20rocsparse_direction_NS_24const_host_device_scalarIT0_EES2_PKS2_PKT1_SB_S8_PKT3_PKT4_S6_PT5_21rocsparse_index_base_b,"axG",@progbits,_ZN9rocsparseL18bsrxmvn_5x5_kernelILj50Efii18rocsparse_bfloat16S1_fEEvT2_20rocsparse_direction_NS_24const_host_device_scalarIT0_EES2_PKS2_PKT1_SB_S8_PKT3_PKT4_S6_PT5_21rocsparse_index_base_b,comdat
	.globl	_ZN9rocsparseL18bsrxmvn_5x5_kernelILj50Efii18rocsparse_bfloat16S1_fEEvT2_20rocsparse_direction_NS_24const_host_device_scalarIT0_EES2_PKS2_PKT1_SB_S8_PKT3_PKT4_S6_PT5_21rocsparse_index_base_b ; -- Begin function _ZN9rocsparseL18bsrxmvn_5x5_kernelILj50Efii18rocsparse_bfloat16S1_fEEvT2_20rocsparse_direction_NS_24const_host_device_scalarIT0_EES2_PKS2_PKT1_SB_S8_PKT3_PKT4_S6_PT5_21rocsparse_index_base_b
	.p2align	8
	.type	_ZN9rocsparseL18bsrxmvn_5x5_kernelILj50Efii18rocsparse_bfloat16S1_fEEvT2_20rocsparse_direction_NS_24const_host_device_scalarIT0_EES2_PKS2_PKT1_SB_S8_PKT3_PKT4_S6_PT5_21rocsparse_index_base_b,@function
_ZN9rocsparseL18bsrxmvn_5x5_kernelILj50Efii18rocsparse_bfloat16S1_fEEvT2_20rocsparse_direction_NS_24const_host_device_scalarIT0_EES2_PKS2_PKT1_SB_S8_PKT3_PKT4_S6_PT5_21rocsparse_index_base_b: ; @_ZN9rocsparseL18bsrxmvn_5x5_kernelILj50Efii18rocsparse_bfloat16S1_fEEvT2_20rocsparse_direction_NS_24const_host_device_scalarIT0_EES2_PKS2_PKT1_SB_S8_PKT3_PKT4_S6_PT5_21rocsparse_index_base_b
; %bb.0:
	s_clause 0x2
	s_load_dwordx2 s[14:15], s[4:5], 0x58
	s_load_dwordx2 s[10:11], s[4:5], 0x8
	;; [unrolled: 1-line block ×3, first 2 shown]
	s_waitcnt lgkmcnt(0)
	s_bitcmp1_b32 s15, 0
	s_cselect_b32 s0, -1, 0
	s_and_b32 vcc_lo, exec_lo, s0
	s_xor_b32 s0, s0, -1
	s_cbranch_vccnz .LBB27_2
; %bb.1:
	s_load_dword s10, s[10:11], 0x0
.LBB27_2:
	s_andn2_b32 vcc_lo, exec_lo, s0
	s_cbranch_vccnz .LBB27_4
; %bb.3:
	s_load_dword s8, s[8:9], 0x0
.LBB27_4:
	s_waitcnt lgkmcnt(0)
	v_cmp_neq_f32_e64 s0, s10, 0
	v_cmp_neq_f32_e64 s1, s8, 1.0
	s_or_b32 s0, s0, s1
	s_andn2_b32 vcc_lo, exec_lo, s0
	s_cbranch_vccnz .LBB27_36
; %bb.5:
	s_clause 0x1
	s_load_dwordx4 s[0:3], s[4:5], 0x18
	s_load_dwordx2 s[12:13], s[4:5], 0x28
	s_waitcnt lgkmcnt(0)
	s_cmp_eq_u64 s[0:1], 0
	s_cbranch_scc1 .LBB27_7
; %bb.6:
	s_ashr_i32 s7, s6, 31
	s_lshl_b64 s[6:7], s[6:7], 2
	s_add_u32 s0, s0, s6
	s_addc_u32 s1, s1, s7
	s_load_dword s0, s[0:1], 0x0
	s_waitcnt lgkmcnt(0)
	s_sub_i32 s6, s0, s14
.LBB27_7:
	s_load_dword s0, s[4:5], 0x4
	v_mul_u32_u24_e32 v1, 0x3334, v0
	v_mov_b32_e32 v6, 0
	v_lshrrev_b32_e32 v1, 16, v1
	v_mul_lo_u16 v2, v1, 5
	v_sub_nc_u16 v7, v0, v2
	s_waitcnt lgkmcnt(0)
	s_cmp_eq_u32 s0, 1
	s_cselect_b32 vcc_lo, -1, 0
	s_cmp_lg_u32 s0, 1
	s_cselect_b32 s9, -1, 0
	s_ashr_i32 s7, s6, 31
	s_lshl_b64 s[0:1], s[6:7], 2
	s_add_u32 s2, s2, s0
	s_addc_u32 s3, s3, s1
	s_add_u32 s7, s2, 4
	s_addc_u32 s11, s3, 0
	;; [unrolled: 2-line block ×3, first 2 shown]
	s_cmp_eq_u64 s[12:13], 0
	s_load_dwordx2 s[12:13], s[4:5], 0x50
	s_cselect_b32 s1, s11, s1
	s_cselect_b32 s0, s7, s0
	s_load_dword s11, s[2:3], 0x0
	s_load_dword s7, s[0:1], 0x0
	s_waitcnt lgkmcnt(0)
	s_cmp_ge_i32 s11, s7
	s_cbranch_scc1 .LBB27_12
; %bb.8:
	v_mul_lo_u16 v2, v1, 52
	s_clause 0x1
	s_load_dwordx4 s[0:3], s[4:5], 0x30
	s_load_dwordx2 s[4:5], s[4:5], 0x40
	v_mov_b32_e32 v4, 0xa3e
	v_and_b32_e32 v5, 0xffff, v7
	s_mul_i32 s15, s14, 25
	v_lshrrev_b16 v2, 8, v2
	s_sub_i32 s7, s7, s14
	v_mul_u32_u24_sdwa v8, v0, v4 dst_sel:DWORD dst_unused:UNUSED_PAD src0_sel:WORD_0 src1_sel:DWORD
	v_mul_lo_u16 v2, v2, 5
	v_sub_nc_u16 v3, v1, v2
	v_mad_u64_u32 v[1:2], null, s11, 25, v[0:1]
	v_mov_b32_e32 v2, 0
	s_sub_i32 s11, s11, s14
	v_and_b32_e32 v3, 0xff, v3
	v_mov_b32_e32 v6, v2
	v_subrev_nc_u32_e32 v1, s15, v1
	v_cndmask_b32_e32 v3, v5, v3, vcc_lo
	s_inst_prefetch 0x1
	s_branch .LBB27_10
	.p2align	6
.LBB27_9:                               ;   in Loop: Header=BB27_10 Depth=1
	s_or_b32 exec_lo, exec_lo, s15
	v_add_nc_u32_e32 v1, 50, v1
	s_add_i32 s11, s11, 2
	s_cmp_ge_i32 s11, s7
	s_cbranch_scc1 .LBB27_12
.LBB27_10:                              ; =>This Inner Loop Header: Depth=1
	v_add_nc_u32_sdwa v4, v8, s11 dst_sel:DWORD dst_unused:UNUSED_PAD src0_sel:WORD_1 src1_sel:DWORD
	s_mov_b32 s15, exec_lo
	v_cmpx_gt_i32_e64 s7, v4
	s_cbranch_execz .LBB27_9
; %bb.11:                               ;   in Loop: Header=BB27_10 Depth=1
	v_ashrrev_i32_e32 v5, 31, v4
	v_lshlrev_b64 v[9:10], 1, v[1:2]
	v_lshlrev_b64 v[4:5], 2, v[4:5]
	s_waitcnt lgkmcnt(0)
	v_add_co_u32 v4, vcc_lo, s0, v4
	v_add_co_ci_u32_e64 v5, null, s1, v5, vcc_lo
	v_add_co_u32 v9, vcc_lo, s2, v9
	v_add_co_ci_u32_e64 v10, null, s3, v10, vcc_lo
	global_load_dword v4, v[4:5], off
	s_waitcnt vmcnt(0)
	v_subrev_nc_u32_e32 v4, s14, v4
	v_mad_u64_u32 v[4:5], null, v4, 5, v[3:4]
	v_ashrrev_i32_e32 v5, 31, v4
	v_lshlrev_b64 v[4:5], 1, v[4:5]
	v_add_co_u32 v4, vcc_lo, s4, v4
	v_add_co_ci_u32_e64 v5, null, s5, v5, vcc_lo
	global_load_ushort v9, v[9:10], off
	global_load_ushort v4, v[4:5], off
	s_waitcnt vmcnt(1)
	v_lshlrev_b32_e32 v5, 16, v9
	s_waitcnt vmcnt(0)
	v_lshlrev_b32_e32 v4, 16, v4
	v_fmac_f32_e32 v6, v5, v4
	s_branch .LBB27_9
.LBB27_12:
	s_inst_prefetch 0x2
	v_lshlrev_b32_e32 v1, 2, v0
	s_and_b32 vcc_lo, exec_lo, s9
	ds_write_b32 v1, v6
	s_waitcnt lgkmcnt(0)
	buffer_gl0_inv
	s_cbranch_vccz .LBB27_22
; %bb.13:
	s_mov_b32 s0, exec_lo
	v_cmpx_gt_u32_e32 25, v0
	s_cbranch_execz .LBB27_15
; %bb.14:
	ds_read2_b32 v[2:3], v1 offset1:25
	s_waitcnt lgkmcnt(0)
	v_add_f32_e32 v2, v3, v2
	ds_write_b32 v1, v2
.LBB27_15:
	s_or_b32 exec_lo, exec_lo, s0
	s_mov_b32 s0, exec_lo
	s_waitcnt lgkmcnt(0)
	buffer_gl0_inv
	v_cmpx_eq_u16_e32 0, v7
	s_cbranch_execz .LBB27_17
; %bb.16:
	ds_read2_b32 v[2:3], v1 offset1:4
	s_waitcnt lgkmcnt(0)
	v_add_f32_e32 v2, v3, v2
	ds_write_b32 v1, v2
.LBB27_17:
	s_or_b32 exec_lo, exec_lo, s0
	s_mov_b32 s0, exec_lo
	s_waitcnt lgkmcnt(0)
	buffer_gl0_inv
	v_cmpx_gt_u16_e32 2, v7
	s_cbranch_execz .LBB27_19
; %bb.18:
	ds_read2_b32 v[2:3], v1 offset1:2
	s_waitcnt lgkmcnt(0)
	v_add_f32_e32 v2, v3, v2
	ds_write_b32 v1, v2
.LBB27_19:
	s_or_b32 exec_lo, exec_lo, s0
	v_mov_b32_e32 v2, v6
	s_mov_b32 s0, exec_lo
	s_waitcnt lgkmcnt(0)
	buffer_gl0_inv
	v_cmpx_gt_u32_e32 5, v0
	s_cbranch_execz .LBB27_21
; %bb.20:
	v_lshl_add_u32 v2, v0, 4, v1
	ds_read2_b32 v[2:3], v2 offset1:1
	s_waitcnt lgkmcnt(0)
	v_add_f32_e32 v2, v2, v3
.LBB27_21:
	s_or_b32 exec_lo, exec_lo, s0
	s_branch .LBB27_32
.LBB27_22:
                                        ; implicit-def: $vgpr2
	s_cbranch_execz .LBB27_32
; %bb.23:
	v_cmp_gt_u32_e32 vcc_lo, 10, v0
	s_and_saveexec_b32 s0, vcc_lo
	s_cbranch_execz .LBB27_25
; %bb.24:
	ds_read2_b32 v[2:3], v1 offset1:40
	s_waitcnt lgkmcnt(0)
	v_add_f32_e32 v2, v3, v2
	ds_write_b32 v1, v2
.LBB27_25:
	s_or_b32 exec_lo, exec_lo, s0
	s_mov_b32 s1, exec_lo
	s_waitcnt lgkmcnt(0)
	buffer_gl0_inv
	v_cmpx_gt_u32_e32 20, v0
	s_cbranch_execz .LBB27_27
; %bb.26:
	ds_read2_b32 v[2:3], v1 offset1:20
	s_waitcnt lgkmcnt(0)
	v_add_f32_e32 v2, v3, v2
	ds_write_b32 v1, v2
.LBB27_27:
	s_or_b32 exec_lo, exec_lo, s1
	s_waitcnt lgkmcnt(0)
	buffer_gl0_inv
	s_and_saveexec_b32 s0, vcc_lo
	s_cbranch_execz .LBB27_29
; %bb.28:
	ds_read2_b32 v[2:3], v1 offset1:10
	s_waitcnt lgkmcnt(0)
	v_add_f32_e32 v2, v3, v2
	ds_write_b32 v1, v2
.LBB27_29:
	s_or_b32 exec_lo, exec_lo, s0
	s_mov_b32 s0, exec_lo
	s_waitcnt lgkmcnt(0)
	buffer_gl0_inv
	v_cmpx_gt_u32_e32 5, v0
	s_cbranch_execz .LBB27_31
; %bb.30:
	ds_read2_b32 v[1:2], v1 offset1:5
	s_waitcnt lgkmcnt(0)
	v_add_f32_e32 v6, v1, v2
.LBB27_31:
	s_or_b32 exec_lo, exec_lo, s0
	v_mov_b32_e32 v2, v6
.LBB27_32:
	s_mov_b32 s0, exec_lo
	v_cmpx_gt_u32_e32 5, v0
	s_cbranch_execz .LBB27_36
; %bb.33:
	v_cmp_eq_f32_e64 s0, s8, 0
	v_mul_f32_e32 v1, s10, v2
	s_and_b32 vcc_lo, exec_lo, s0
	s_mov_b32 s0, 0
	s_cbranch_vccz .LBB27_37
; %bb.34:
	v_mad_u64_u32 v[2:3], null, s6, 5, v[0:1]
	v_mov_b32_e32 v3, 0
	v_lshlrev_b64 v[2:3], 2, v[2:3]
	v_add_co_u32 v2, vcc_lo, s12, v2
	v_add_co_ci_u32_e64 v3, null, s13, v3, vcc_lo
	global_store_dword v[2:3], v1, off
	s_andn2_b32 vcc_lo, exec_lo, s0
	s_cbranch_vccnz .LBB27_36
.LBB27_35:
	v_mad_u64_u32 v[2:3], null, s6, 5, v[0:1]
	v_mov_b32_e32 v3, 0
	v_lshlrev_b64 v[2:3], 2, v[2:3]
	v_add_co_u32 v2, vcc_lo, s12, v2
	v_add_co_ci_u32_e64 v3, null, s13, v3, vcc_lo
	global_load_dword v0, v[2:3], off
	s_waitcnt vmcnt(0)
	v_fmac_f32_e32 v1, s8, v0
	global_store_dword v[2:3], v1, off
.LBB27_36:
	s_endpgm
.LBB27_37:
	s_branch .LBB27_35
	.section	.rodata,"a",@progbits
	.p2align	6, 0x0
	.amdhsa_kernel _ZN9rocsparseL18bsrxmvn_5x5_kernelILj50Efii18rocsparse_bfloat16S1_fEEvT2_20rocsparse_direction_NS_24const_host_device_scalarIT0_EES2_PKS2_PKT1_SB_S8_PKT3_PKT4_S6_PT5_21rocsparse_index_base_b
		.amdhsa_group_segment_fixed_size 200
		.amdhsa_private_segment_fixed_size 0
		.amdhsa_kernarg_size 96
		.amdhsa_user_sgpr_count 6
		.amdhsa_user_sgpr_private_segment_buffer 1
		.amdhsa_user_sgpr_dispatch_ptr 0
		.amdhsa_user_sgpr_queue_ptr 0
		.amdhsa_user_sgpr_kernarg_segment_ptr 1
		.amdhsa_user_sgpr_dispatch_id 0
		.amdhsa_user_sgpr_flat_scratch_init 0
		.amdhsa_user_sgpr_private_segment_size 0
		.amdhsa_wavefront_size32 1
		.amdhsa_uses_dynamic_stack 0
		.amdhsa_system_sgpr_private_segment_wavefront_offset 0
		.amdhsa_system_sgpr_workgroup_id_x 1
		.amdhsa_system_sgpr_workgroup_id_y 0
		.amdhsa_system_sgpr_workgroup_id_z 0
		.amdhsa_system_sgpr_workgroup_info 0
		.amdhsa_system_vgpr_workitem_id 0
		.amdhsa_next_free_vgpr 11
		.amdhsa_next_free_sgpr 16
		.amdhsa_reserve_vcc 1
		.amdhsa_reserve_flat_scratch 0
		.amdhsa_float_round_mode_32 0
		.amdhsa_float_round_mode_16_64 0
		.amdhsa_float_denorm_mode_32 3
		.amdhsa_float_denorm_mode_16_64 3
		.amdhsa_dx10_clamp 1
		.amdhsa_ieee_mode 1
		.amdhsa_fp16_overflow 0
		.amdhsa_workgroup_processor_mode 1
		.amdhsa_memory_ordered 1
		.amdhsa_forward_progress 1
		.amdhsa_shared_vgpr_count 0
		.amdhsa_exception_fp_ieee_invalid_op 0
		.amdhsa_exception_fp_denorm_src 0
		.amdhsa_exception_fp_ieee_div_zero 0
		.amdhsa_exception_fp_ieee_overflow 0
		.amdhsa_exception_fp_ieee_underflow 0
		.amdhsa_exception_fp_ieee_inexact 0
		.amdhsa_exception_int_div_zero 0
	.end_amdhsa_kernel
	.section	.text._ZN9rocsparseL18bsrxmvn_5x5_kernelILj50Efii18rocsparse_bfloat16S1_fEEvT2_20rocsparse_direction_NS_24const_host_device_scalarIT0_EES2_PKS2_PKT1_SB_S8_PKT3_PKT4_S6_PT5_21rocsparse_index_base_b,"axG",@progbits,_ZN9rocsparseL18bsrxmvn_5x5_kernelILj50Efii18rocsparse_bfloat16S1_fEEvT2_20rocsparse_direction_NS_24const_host_device_scalarIT0_EES2_PKS2_PKT1_SB_S8_PKT3_PKT4_S6_PT5_21rocsparse_index_base_b,comdat
.Lfunc_end27:
	.size	_ZN9rocsparseL18bsrxmvn_5x5_kernelILj50Efii18rocsparse_bfloat16S1_fEEvT2_20rocsparse_direction_NS_24const_host_device_scalarIT0_EES2_PKS2_PKT1_SB_S8_PKT3_PKT4_S6_PT5_21rocsparse_index_base_b, .Lfunc_end27-_ZN9rocsparseL18bsrxmvn_5x5_kernelILj50Efii18rocsparse_bfloat16S1_fEEvT2_20rocsparse_direction_NS_24const_host_device_scalarIT0_EES2_PKS2_PKT1_SB_S8_PKT3_PKT4_S6_PT5_21rocsparse_index_base_b
                                        ; -- End function
	.set _ZN9rocsparseL18bsrxmvn_5x5_kernelILj50Efii18rocsparse_bfloat16S1_fEEvT2_20rocsparse_direction_NS_24const_host_device_scalarIT0_EES2_PKS2_PKT1_SB_S8_PKT3_PKT4_S6_PT5_21rocsparse_index_base_b.num_vgpr, 11
	.set _ZN9rocsparseL18bsrxmvn_5x5_kernelILj50Efii18rocsparse_bfloat16S1_fEEvT2_20rocsparse_direction_NS_24const_host_device_scalarIT0_EES2_PKS2_PKT1_SB_S8_PKT3_PKT4_S6_PT5_21rocsparse_index_base_b.num_agpr, 0
	.set _ZN9rocsparseL18bsrxmvn_5x5_kernelILj50Efii18rocsparse_bfloat16S1_fEEvT2_20rocsparse_direction_NS_24const_host_device_scalarIT0_EES2_PKS2_PKT1_SB_S8_PKT3_PKT4_S6_PT5_21rocsparse_index_base_b.numbered_sgpr, 16
	.set _ZN9rocsparseL18bsrxmvn_5x5_kernelILj50Efii18rocsparse_bfloat16S1_fEEvT2_20rocsparse_direction_NS_24const_host_device_scalarIT0_EES2_PKS2_PKT1_SB_S8_PKT3_PKT4_S6_PT5_21rocsparse_index_base_b.num_named_barrier, 0
	.set _ZN9rocsparseL18bsrxmvn_5x5_kernelILj50Efii18rocsparse_bfloat16S1_fEEvT2_20rocsparse_direction_NS_24const_host_device_scalarIT0_EES2_PKS2_PKT1_SB_S8_PKT3_PKT4_S6_PT5_21rocsparse_index_base_b.private_seg_size, 0
	.set _ZN9rocsparseL18bsrxmvn_5x5_kernelILj50Efii18rocsparse_bfloat16S1_fEEvT2_20rocsparse_direction_NS_24const_host_device_scalarIT0_EES2_PKS2_PKT1_SB_S8_PKT3_PKT4_S6_PT5_21rocsparse_index_base_b.uses_vcc, 1
	.set _ZN9rocsparseL18bsrxmvn_5x5_kernelILj50Efii18rocsparse_bfloat16S1_fEEvT2_20rocsparse_direction_NS_24const_host_device_scalarIT0_EES2_PKS2_PKT1_SB_S8_PKT3_PKT4_S6_PT5_21rocsparse_index_base_b.uses_flat_scratch, 0
	.set _ZN9rocsparseL18bsrxmvn_5x5_kernelILj50Efii18rocsparse_bfloat16S1_fEEvT2_20rocsparse_direction_NS_24const_host_device_scalarIT0_EES2_PKS2_PKT1_SB_S8_PKT3_PKT4_S6_PT5_21rocsparse_index_base_b.has_dyn_sized_stack, 0
	.set _ZN9rocsparseL18bsrxmvn_5x5_kernelILj50Efii18rocsparse_bfloat16S1_fEEvT2_20rocsparse_direction_NS_24const_host_device_scalarIT0_EES2_PKS2_PKT1_SB_S8_PKT3_PKT4_S6_PT5_21rocsparse_index_base_b.has_recursion, 0
	.set _ZN9rocsparseL18bsrxmvn_5x5_kernelILj50Efii18rocsparse_bfloat16S1_fEEvT2_20rocsparse_direction_NS_24const_host_device_scalarIT0_EES2_PKS2_PKT1_SB_S8_PKT3_PKT4_S6_PT5_21rocsparse_index_base_b.has_indirect_call, 0
	.section	.AMDGPU.csdata,"",@progbits
; Kernel info:
; codeLenInByte = 1228
; TotalNumSgprs: 18
; NumVgprs: 11
; ScratchSize: 0
; MemoryBound: 0
; FloatMode: 240
; IeeeMode: 1
; LDSByteSize: 200 bytes/workgroup (compile time only)
; SGPRBlocks: 0
; VGPRBlocks: 1
; NumSGPRsForWavesPerEU: 18
; NumVGPRsForWavesPerEU: 11
; Occupancy: 16
; WaveLimiterHint : 1
; COMPUTE_PGM_RSRC2:SCRATCH_EN: 0
; COMPUTE_PGM_RSRC2:USER_SGPR: 6
; COMPUTE_PGM_RSRC2:TRAP_HANDLER: 0
; COMPUTE_PGM_RSRC2:TGID_X_EN: 1
; COMPUTE_PGM_RSRC2:TGID_Y_EN: 0
; COMPUTE_PGM_RSRC2:TGID_Z_EN: 0
; COMPUTE_PGM_RSRC2:TIDIG_COMP_CNT: 0
	.section	.text._ZN9rocsparseL18bsrxmvn_5x5_kernelILj50Efli18rocsparse_bfloat16S1_fEEvT2_20rocsparse_direction_NS_24const_host_device_scalarIT0_EES2_PKS2_PKT1_SB_S8_PKT3_PKT4_S6_PT5_21rocsparse_index_base_b,"axG",@progbits,_ZN9rocsparseL18bsrxmvn_5x5_kernelILj50Efli18rocsparse_bfloat16S1_fEEvT2_20rocsparse_direction_NS_24const_host_device_scalarIT0_EES2_PKS2_PKT1_SB_S8_PKT3_PKT4_S6_PT5_21rocsparse_index_base_b,comdat
	.globl	_ZN9rocsparseL18bsrxmvn_5x5_kernelILj50Efli18rocsparse_bfloat16S1_fEEvT2_20rocsparse_direction_NS_24const_host_device_scalarIT0_EES2_PKS2_PKT1_SB_S8_PKT3_PKT4_S6_PT5_21rocsparse_index_base_b ; -- Begin function _ZN9rocsparseL18bsrxmvn_5x5_kernelILj50Efli18rocsparse_bfloat16S1_fEEvT2_20rocsparse_direction_NS_24const_host_device_scalarIT0_EES2_PKS2_PKT1_SB_S8_PKT3_PKT4_S6_PT5_21rocsparse_index_base_b
	.p2align	8
	.type	_ZN9rocsparseL18bsrxmvn_5x5_kernelILj50Efli18rocsparse_bfloat16S1_fEEvT2_20rocsparse_direction_NS_24const_host_device_scalarIT0_EES2_PKS2_PKT1_SB_S8_PKT3_PKT4_S6_PT5_21rocsparse_index_base_b,@function
_ZN9rocsparseL18bsrxmvn_5x5_kernelILj50Efli18rocsparse_bfloat16S1_fEEvT2_20rocsparse_direction_NS_24const_host_device_scalarIT0_EES2_PKS2_PKT1_SB_S8_PKT3_PKT4_S6_PT5_21rocsparse_index_base_b: ; @_ZN9rocsparseL18bsrxmvn_5x5_kernelILj50Efli18rocsparse_bfloat16S1_fEEvT2_20rocsparse_direction_NS_24const_host_device_scalarIT0_EES2_PKS2_PKT1_SB_S8_PKT3_PKT4_S6_PT5_21rocsparse_index_base_b
; %bb.0:
	s_clause 0x2
	s_load_dwordx2 s[12:13], s[4:5], 0x58
	s_load_dwordx2 s[10:11], s[4:5], 0x8
	;; [unrolled: 1-line block ×3, first 2 shown]
	s_waitcnt lgkmcnt(0)
	s_bitcmp1_b32 s13, 0
	s_cselect_b32 s0, -1, 0
	s_and_b32 vcc_lo, exec_lo, s0
	s_xor_b32 s0, s0, -1
	s_cbranch_vccnz .LBB28_2
; %bb.1:
	s_load_dword s10, s[10:11], 0x0
.LBB28_2:
	s_andn2_b32 vcc_lo, exec_lo, s0
	s_cbranch_vccnz .LBB28_4
; %bb.3:
	s_load_dword s8, s[8:9], 0x0
.LBB28_4:
	s_waitcnt lgkmcnt(0)
	v_cmp_neq_f32_e64 s0, s10, 0
	v_cmp_neq_f32_e64 s1, s8, 1.0
	s_or_b32 s0, s0, s1
	s_andn2_b32 vcc_lo, exec_lo, s0
	s_cbranch_vccnz .LBB28_36
; %bb.5:
	s_clause 0x1
	s_load_dwordx4 s[0:3], s[4:5], 0x18
	s_load_dwordx2 s[14:15], s[4:5], 0x28
	s_waitcnt lgkmcnt(0)
	s_cmp_eq_u64 s[0:1], 0
	s_cbranch_scc1 .LBB28_7
; %bb.6:
	s_ashr_i32 s7, s6, 31
	s_lshl_b64 s[6:7], s[6:7], 2
	s_add_u32 s0, s0, s6
	s_addc_u32 s1, s1, s7
	s_load_dword s0, s[0:1], 0x0
	s_waitcnt lgkmcnt(0)
	s_sub_i32 s6, s0, s12
.LBB28_7:
	s_load_dword s1, s[4:5], 0x4
	v_mul_u32_u24_e32 v1, 0x3334, v0
	v_mov_b32_e32 v2, 0
	v_lshrrev_b32_e32 v3, 16, v1
	v_mul_lo_u16 v1, v3, 5
	v_sub_nc_u16 v7, v0, v1
	s_waitcnt lgkmcnt(0)
	s_cmp_eq_u32 s1, 1
	s_cselect_b32 s0, -1, 0
	s_cmp_lg_u32 s1, 1
	s_cselect_b32 s9, -1, 0
	s_ashr_i32 s7, s6, 31
	s_lshl_b64 s[16:17], s[6:7], 3
	s_add_u32 s2, s2, s16
	s_addc_u32 s3, s3, s17
	s_add_u32 s1, s2, 8
	s_addc_u32 s7, s3, 0
	;; [unrolled: 2-line block ×3, first 2 shown]
	s_cmp_eq_u64 s[14:15], 0
	s_cselect_b32 s15, s7, s13
	s_cselect_b32 s14, s1, s11
	s_load_dwordx2 s[16:17], s[2:3], 0x0
	s_load_dwordx2 s[14:15], s[14:15], 0x0
	;; [unrolled: 1-line block ×3, first 2 shown]
	s_waitcnt lgkmcnt(0)
	v_cmp_ge_i64_e64 s1, s[16:17], s[14:15]
	s_and_b32 vcc_lo, exec_lo, s1
	s_cbranch_vccnz .LBB28_12
; %bb.8:
	v_mul_lo_u16 v1, v3, 52
	v_mov_b32_e32 v6, 0xa3e
	v_mov_b32_e32 v2, 0
	s_clause 0x1
	s_load_dwordx4 s[20:23], s[4:5], 0x30
	s_load_dwordx2 s[4:5], s[4:5], 0x40
	v_and_b32_e32 v9, 0xffff, v7
	v_lshrrev_b16 v4, 8, v1
	v_lshlrev_b32_e32 v1, 1, v0
	s_mul_i32 s7, s12, 50
	s_mul_hi_u32 s1, s12, 50
	s_sub_u32 s14, s14, s12
	v_mul_lo_u16 v8, v4, 5
	v_mad_u64_u32 v[4:5], null, s16, 50, v[1:2]
	v_mul_u32_u24_sdwa v1, v0, v6 dst_sel:DWORD dst_unused:UNUSED_PAD src0_sel:WORD_0 src1_sel:DWORD
	s_subb_u32 s15, s15, 0
	v_sub_nc_u16 v3, v3, v8
	v_lshrrev_b32_e32 v8, 16, v1
	v_mov_b32_e32 v1, v5
	v_and_b32_e32 v3, 0xff, v3
	v_add_co_u32 v10, s11, s16, v8
	v_add_co_ci_u32_e64 v11, null, s17, 0, s11
	v_mad_u64_u32 v[5:6], null, s17, 50, v[1:2]
	v_cndmask_b32_e64 v1, v9, v3, s0
	v_sub_co_u32 v9, vcc_lo, v10, s12
	v_subrev_co_ci_u32_e64 v10, null, 0, v11, vcc_lo
	v_sub_co_u32 v3, vcc_lo, v4, s7
	v_subrev_co_ci_u32_e64 v4, null, s1, v5, vcc_lo
	v_lshlrev_b64 v[5:6], 2, v[9:10]
	s_waitcnt lgkmcnt(0)
	v_add_co_u32 v3, vcc_lo, s22, v3
	v_add_co_ci_u32_e64 v4, null, s23, v4, vcc_lo
	s_sub_u32 s0, s16, s12
	v_add_co_u32 v5, vcc_lo, s20, v5
	v_add_co_ci_u32_e64 v6, null, s21, v6, vcc_lo
	s_subb_u32 s1, s17, 0
	s_inst_prefetch 0x1
	s_branch .LBB28_10
	.p2align	6
.LBB28_9:                               ;   in Loop: Header=BB28_10 Depth=1
	s_or_b32 exec_lo, exec_lo, s7
	s_add_u32 s0, s0, 2
	s_addc_u32 s1, s1, 0
	v_add_co_u32 v3, vcc_lo, 0x64, v3
	v_cmp_ge_i64_e64 s7, s[0:1], s[14:15]
	v_add_co_ci_u32_e64 v4, null, 0, v4, vcc_lo
	v_add_co_u32 v5, vcc_lo, v5, 8
	v_add_co_ci_u32_e64 v6, null, 0, v6, vcc_lo
	s_and_b32 vcc_lo, exec_lo, s7
	s_cbranch_vccnz .LBB28_12
.LBB28_10:                              ; =>This Inner Loop Header: Depth=1
	v_add_co_u32 v9, s7, v8, s0
	v_add_co_ci_u32_e64 v10, null, 0, s1, s7
	s_mov_b32 s7, exec_lo
	v_cmpx_gt_i64_e64 s[14:15], v[9:10]
	s_cbranch_execz .LBB28_9
; %bb.11:                               ;   in Loop: Header=BB28_10 Depth=1
	global_load_dword v9, v[5:6], off
	s_waitcnt vmcnt(0)
	v_subrev_nc_u32_e32 v9, s12, v9
	v_mad_u64_u32 v[9:10], null, v9, 5, v[1:2]
	v_ashrrev_i32_e32 v10, 31, v9
	v_lshlrev_b64 v[9:10], 1, v[9:10]
	v_add_co_u32 v9, vcc_lo, s4, v9
	v_add_co_ci_u32_e64 v10, null, s5, v10, vcc_lo
	global_load_ushort v11, v[3:4], off
	global_load_ushort v9, v[9:10], off
	s_waitcnt vmcnt(1)
	v_lshlrev_b32_e32 v10, 16, v11
	s_waitcnt vmcnt(0)
	v_lshlrev_b32_e32 v9, 16, v9
	v_fmac_f32_e32 v2, v10, v9
	s_branch .LBB28_9
.LBB28_12:
	s_inst_prefetch 0x2
	v_lshlrev_b32_e32 v1, 2, v0
	s_and_b32 vcc_lo, exec_lo, s9
	ds_write_b32 v1, v2
	s_waitcnt lgkmcnt(0)
	buffer_gl0_inv
	s_cbranch_vccz .LBB28_22
; %bb.13:
	s_mov_b32 s0, exec_lo
	v_cmpx_gt_u32_e32 25, v0
	s_cbranch_execz .LBB28_15
; %bb.14:
	ds_read2_b32 v[3:4], v1 offset1:25
	s_waitcnt lgkmcnt(0)
	v_add_f32_e32 v3, v4, v3
	ds_write_b32 v1, v3
.LBB28_15:
	s_or_b32 exec_lo, exec_lo, s0
	s_mov_b32 s0, exec_lo
	s_waitcnt lgkmcnt(0)
	buffer_gl0_inv
	v_cmpx_eq_u16_e32 0, v7
	s_cbranch_execz .LBB28_17
; %bb.16:
	ds_read2_b32 v[3:4], v1 offset1:4
	s_waitcnt lgkmcnt(0)
	v_add_f32_e32 v3, v4, v3
	ds_write_b32 v1, v3
.LBB28_17:
	s_or_b32 exec_lo, exec_lo, s0
	s_mov_b32 s0, exec_lo
	s_waitcnt lgkmcnt(0)
	buffer_gl0_inv
	v_cmpx_gt_u16_e32 2, v7
	s_cbranch_execz .LBB28_19
; %bb.18:
	ds_read2_b32 v[3:4], v1 offset1:2
	s_waitcnt lgkmcnt(0)
	v_add_f32_e32 v3, v4, v3
	ds_write_b32 v1, v3
.LBB28_19:
	s_or_b32 exec_lo, exec_lo, s0
	v_mov_b32_e32 v3, v2
	s_mov_b32 s0, exec_lo
	s_waitcnt lgkmcnt(0)
	buffer_gl0_inv
	v_cmpx_gt_u32_e32 5, v0
	s_cbranch_execz .LBB28_21
; %bb.20:
	v_lshl_add_u32 v3, v0, 4, v1
	ds_read2_b32 v[3:4], v3 offset1:1
	s_waitcnt lgkmcnt(0)
	v_add_f32_e32 v3, v3, v4
.LBB28_21:
	s_or_b32 exec_lo, exec_lo, s0
	s_branch .LBB28_32
.LBB28_22:
                                        ; implicit-def: $vgpr3
	s_cbranch_execz .LBB28_32
; %bb.23:
	v_cmp_gt_u32_e32 vcc_lo, 10, v0
	s_and_saveexec_b32 s0, vcc_lo
	s_cbranch_execz .LBB28_25
; %bb.24:
	ds_read2_b32 v[3:4], v1 offset1:40
	s_waitcnt lgkmcnt(0)
	v_add_f32_e32 v3, v4, v3
	ds_write_b32 v1, v3
.LBB28_25:
	s_or_b32 exec_lo, exec_lo, s0
	s_mov_b32 s1, exec_lo
	s_waitcnt lgkmcnt(0)
	buffer_gl0_inv
	v_cmpx_gt_u32_e32 20, v0
	s_cbranch_execz .LBB28_27
; %bb.26:
	ds_read2_b32 v[3:4], v1 offset1:20
	s_waitcnt lgkmcnt(0)
	v_add_f32_e32 v3, v4, v3
	ds_write_b32 v1, v3
.LBB28_27:
	s_or_b32 exec_lo, exec_lo, s1
	s_waitcnt lgkmcnt(0)
	buffer_gl0_inv
	s_and_saveexec_b32 s0, vcc_lo
	s_cbranch_execz .LBB28_29
; %bb.28:
	ds_read2_b32 v[3:4], v1 offset1:10
	s_waitcnt lgkmcnt(0)
	v_add_f32_e32 v3, v4, v3
	ds_write_b32 v1, v3
.LBB28_29:
	s_or_b32 exec_lo, exec_lo, s0
	s_mov_b32 s0, exec_lo
	s_waitcnt lgkmcnt(0)
	buffer_gl0_inv
	v_cmpx_gt_u32_e32 5, v0
	s_cbranch_execz .LBB28_31
; %bb.30:
	ds_read2_b32 v[1:2], v1 offset1:5
	s_waitcnt lgkmcnt(0)
	v_add_f32_e32 v2, v1, v2
.LBB28_31:
	s_or_b32 exec_lo, exec_lo, s0
	v_mov_b32_e32 v3, v2
.LBB28_32:
	s_mov_b32 s0, exec_lo
	v_cmpx_gt_u32_e32 5, v0
	s_cbranch_execz .LBB28_36
; %bb.33:
	v_cmp_eq_f32_e64 s0, s8, 0
	v_mul_f32_e32 v1, s10, v3
	s_and_b32 vcc_lo, exec_lo, s0
	s_mov_b32 s0, 0
	s_cbranch_vccz .LBB28_37
; %bb.34:
	v_mad_u64_u32 v[2:3], null, s6, 5, v[0:1]
	v_mov_b32_e32 v3, 0
	v_lshlrev_b64 v[2:3], 2, v[2:3]
	v_add_co_u32 v2, vcc_lo, s2, v2
	v_add_co_ci_u32_e64 v3, null, s3, v3, vcc_lo
	global_store_dword v[2:3], v1, off
	s_andn2_b32 vcc_lo, exec_lo, s0
	s_cbranch_vccnz .LBB28_36
.LBB28_35:
	v_mad_u64_u32 v[2:3], null, s6, 5, v[0:1]
	v_mov_b32_e32 v3, 0
	v_lshlrev_b64 v[2:3], 2, v[2:3]
	v_add_co_u32 v2, vcc_lo, s2, v2
	v_add_co_ci_u32_e64 v3, null, s3, v3, vcc_lo
	global_load_dword v0, v[2:3], off
	s_waitcnt vmcnt(0)
	v_fmac_f32_e32 v1, s8, v0
	global_store_dword v[2:3], v1, off
.LBB28_36:
	s_endpgm
.LBB28_37:
	s_branch .LBB28_35
	.section	.rodata,"a",@progbits
	.p2align	6, 0x0
	.amdhsa_kernel _ZN9rocsparseL18bsrxmvn_5x5_kernelILj50Efli18rocsparse_bfloat16S1_fEEvT2_20rocsparse_direction_NS_24const_host_device_scalarIT0_EES2_PKS2_PKT1_SB_S8_PKT3_PKT4_S6_PT5_21rocsparse_index_base_b
		.amdhsa_group_segment_fixed_size 200
		.amdhsa_private_segment_fixed_size 0
		.amdhsa_kernarg_size 96
		.amdhsa_user_sgpr_count 6
		.amdhsa_user_sgpr_private_segment_buffer 1
		.amdhsa_user_sgpr_dispatch_ptr 0
		.amdhsa_user_sgpr_queue_ptr 0
		.amdhsa_user_sgpr_kernarg_segment_ptr 1
		.amdhsa_user_sgpr_dispatch_id 0
		.amdhsa_user_sgpr_flat_scratch_init 0
		.amdhsa_user_sgpr_private_segment_size 0
		.amdhsa_wavefront_size32 1
		.amdhsa_uses_dynamic_stack 0
		.amdhsa_system_sgpr_private_segment_wavefront_offset 0
		.amdhsa_system_sgpr_workgroup_id_x 1
		.amdhsa_system_sgpr_workgroup_id_y 0
		.amdhsa_system_sgpr_workgroup_id_z 0
		.amdhsa_system_sgpr_workgroup_info 0
		.amdhsa_system_vgpr_workitem_id 0
		.amdhsa_next_free_vgpr 12
		.amdhsa_next_free_sgpr 24
		.amdhsa_reserve_vcc 1
		.amdhsa_reserve_flat_scratch 0
		.amdhsa_float_round_mode_32 0
		.amdhsa_float_round_mode_16_64 0
		.amdhsa_float_denorm_mode_32 3
		.amdhsa_float_denorm_mode_16_64 3
		.amdhsa_dx10_clamp 1
		.amdhsa_ieee_mode 1
		.amdhsa_fp16_overflow 0
		.amdhsa_workgroup_processor_mode 1
		.amdhsa_memory_ordered 1
		.amdhsa_forward_progress 1
		.amdhsa_shared_vgpr_count 0
		.amdhsa_exception_fp_ieee_invalid_op 0
		.amdhsa_exception_fp_denorm_src 0
		.amdhsa_exception_fp_ieee_div_zero 0
		.amdhsa_exception_fp_ieee_overflow 0
		.amdhsa_exception_fp_ieee_underflow 0
		.amdhsa_exception_fp_ieee_inexact 0
		.amdhsa_exception_int_div_zero 0
	.end_amdhsa_kernel
	.section	.text._ZN9rocsparseL18bsrxmvn_5x5_kernelILj50Efli18rocsparse_bfloat16S1_fEEvT2_20rocsparse_direction_NS_24const_host_device_scalarIT0_EES2_PKS2_PKT1_SB_S8_PKT3_PKT4_S6_PT5_21rocsparse_index_base_b,"axG",@progbits,_ZN9rocsparseL18bsrxmvn_5x5_kernelILj50Efli18rocsparse_bfloat16S1_fEEvT2_20rocsparse_direction_NS_24const_host_device_scalarIT0_EES2_PKS2_PKT1_SB_S8_PKT3_PKT4_S6_PT5_21rocsparse_index_base_b,comdat
.Lfunc_end28:
	.size	_ZN9rocsparseL18bsrxmvn_5x5_kernelILj50Efli18rocsparse_bfloat16S1_fEEvT2_20rocsparse_direction_NS_24const_host_device_scalarIT0_EES2_PKS2_PKT1_SB_S8_PKT3_PKT4_S6_PT5_21rocsparse_index_base_b, .Lfunc_end28-_ZN9rocsparseL18bsrxmvn_5x5_kernelILj50Efli18rocsparse_bfloat16S1_fEEvT2_20rocsparse_direction_NS_24const_host_device_scalarIT0_EES2_PKS2_PKT1_SB_S8_PKT3_PKT4_S6_PT5_21rocsparse_index_base_b
                                        ; -- End function
	.set _ZN9rocsparseL18bsrxmvn_5x5_kernelILj50Efli18rocsparse_bfloat16S1_fEEvT2_20rocsparse_direction_NS_24const_host_device_scalarIT0_EES2_PKS2_PKT1_SB_S8_PKT3_PKT4_S6_PT5_21rocsparse_index_base_b.num_vgpr, 12
	.set _ZN9rocsparseL18bsrxmvn_5x5_kernelILj50Efli18rocsparse_bfloat16S1_fEEvT2_20rocsparse_direction_NS_24const_host_device_scalarIT0_EES2_PKS2_PKT1_SB_S8_PKT3_PKT4_S6_PT5_21rocsparse_index_base_b.num_agpr, 0
	.set _ZN9rocsparseL18bsrxmvn_5x5_kernelILj50Efli18rocsparse_bfloat16S1_fEEvT2_20rocsparse_direction_NS_24const_host_device_scalarIT0_EES2_PKS2_PKT1_SB_S8_PKT3_PKT4_S6_PT5_21rocsparse_index_base_b.numbered_sgpr, 24
	.set _ZN9rocsparseL18bsrxmvn_5x5_kernelILj50Efli18rocsparse_bfloat16S1_fEEvT2_20rocsparse_direction_NS_24const_host_device_scalarIT0_EES2_PKS2_PKT1_SB_S8_PKT3_PKT4_S6_PT5_21rocsparse_index_base_b.num_named_barrier, 0
	.set _ZN9rocsparseL18bsrxmvn_5x5_kernelILj50Efli18rocsparse_bfloat16S1_fEEvT2_20rocsparse_direction_NS_24const_host_device_scalarIT0_EES2_PKS2_PKT1_SB_S8_PKT3_PKT4_S6_PT5_21rocsparse_index_base_b.private_seg_size, 0
	.set _ZN9rocsparseL18bsrxmvn_5x5_kernelILj50Efli18rocsparse_bfloat16S1_fEEvT2_20rocsparse_direction_NS_24const_host_device_scalarIT0_EES2_PKS2_PKT1_SB_S8_PKT3_PKT4_S6_PT5_21rocsparse_index_base_b.uses_vcc, 1
	.set _ZN9rocsparseL18bsrxmvn_5x5_kernelILj50Efli18rocsparse_bfloat16S1_fEEvT2_20rocsparse_direction_NS_24const_host_device_scalarIT0_EES2_PKS2_PKT1_SB_S8_PKT3_PKT4_S6_PT5_21rocsparse_index_base_b.uses_flat_scratch, 0
	.set _ZN9rocsparseL18bsrxmvn_5x5_kernelILj50Efli18rocsparse_bfloat16S1_fEEvT2_20rocsparse_direction_NS_24const_host_device_scalarIT0_EES2_PKS2_PKT1_SB_S8_PKT3_PKT4_S6_PT5_21rocsparse_index_base_b.has_dyn_sized_stack, 0
	.set _ZN9rocsparseL18bsrxmvn_5x5_kernelILj50Efli18rocsparse_bfloat16S1_fEEvT2_20rocsparse_direction_NS_24const_host_device_scalarIT0_EES2_PKS2_PKT1_SB_S8_PKT3_PKT4_S6_PT5_21rocsparse_index_base_b.has_recursion, 0
	.set _ZN9rocsparseL18bsrxmvn_5x5_kernelILj50Efli18rocsparse_bfloat16S1_fEEvT2_20rocsparse_direction_NS_24const_host_device_scalarIT0_EES2_PKS2_PKT1_SB_S8_PKT3_PKT4_S6_PT5_21rocsparse_index_base_b.has_indirect_call, 0
	.section	.AMDGPU.csdata,"",@progbits
; Kernel info:
; codeLenInByte = 1352
; TotalNumSgprs: 26
; NumVgprs: 12
; ScratchSize: 0
; MemoryBound: 0
; FloatMode: 240
; IeeeMode: 1
; LDSByteSize: 200 bytes/workgroup (compile time only)
; SGPRBlocks: 0
; VGPRBlocks: 1
; NumSGPRsForWavesPerEU: 26
; NumVGPRsForWavesPerEU: 12
; Occupancy: 16
; WaveLimiterHint : 1
; COMPUTE_PGM_RSRC2:SCRATCH_EN: 0
; COMPUTE_PGM_RSRC2:USER_SGPR: 6
; COMPUTE_PGM_RSRC2:TRAP_HANDLER: 0
; COMPUTE_PGM_RSRC2:TGID_X_EN: 1
; COMPUTE_PGM_RSRC2:TGID_Y_EN: 0
; COMPUTE_PGM_RSRC2:TGID_Z_EN: 0
; COMPUTE_PGM_RSRC2:TIDIG_COMP_CNT: 0
	.section	.text._ZN9rocsparseL18bsrxmvn_5x5_kernelILj50Efll18rocsparse_bfloat16S1_fEEvT2_20rocsparse_direction_NS_24const_host_device_scalarIT0_EES2_PKS2_PKT1_SB_S8_PKT3_PKT4_S6_PT5_21rocsparse_index_base_b,"axG",@progbits,_ZN9rocsparseL18bsrxmvn_5x5_kernelILj50Efll18rocsparse_bfloat16S1_fEEvT2_20rocsparse_direction_NS_24const_host_device_scalarIT0_EES2_PKS2_PKT1_SB_S8_PKT3_PKT4_S6_PT5_21rocsparse_index_base_b,comdat
	.globl	_ZN9rocsparseL18bsrxmvn_5x5_kernelILj50Efll18rocsparse_bfloat16S1_fEEvT2_20rocsparse_direction_NS_24const_host_device_scalarIT0_EES2_PKS2_PKT1_SB_S8_PKT3_PKT4_S6_PT5_21rocsparse_index_base_b ; -- Begin function _ZN9rocsparseL18bsrxmvn_5x5_kernelILj50Efll18rocsparse_bfloat16S1_fEEvT2_20rocsparse_direction_NS_24const_host_device_scalarIT0_EES2_PKS2_PKT1_SB_S8_PKT3_PKT4_S6_PT5_21rocsparse_index_base_b
	.p2align	8
	.type	_ZN9rocsparseL18bsrxmvn_5x5_kernelILj50Efll18rocsparse_bfloat16S1_fEEvT2_20rocsparse_direction_NS_24const_host_device_scalarIT0_EES2_PKS2_PKT1_SB_S8_PKT3_PKT4_S6_PT5_21rocsparse_index_base_b,@function
_ZN9rocsparseL18bsrxmvn_5x5_kernelILj50Efll18rocsparse_bfloat16S1_fEEvT2_20rocsparse_direction_NS_24const_host_device_scalarIT0_EES2_PKS2_PKT1_SB_S8_PKT3_PKT4_S6_PT5_21rocsparse_index_base_b: ; @_ZN9rocsparseL18bsrxmvn_5x5_kernelILj50Efll18rocsparse_bfloat16S1_fEEvT2_20rocsparse_direction_NS_24const_host_device_scalarIT0_EES2_PKS2_PKT1_SB_S8_PKT3_PKT4_S6_PT5_21rocsparse_index_base_b
; %bb.0:
	s_clause 0x2
	s_load_dwordx2 s[12:13], s[4:5], 0x60
	s_load_dwordx2 s[10:11], s[4:5], 0x10
	;; [unrolled: 1-line block ×3, first 2 shown]
	s_waitcnt lgkmcnt(0)
	s_bitcmp1_b32 s13, 0
	s_cselect_b32 s0, -1, 0
	s_and_b32 vcc_lo, exec_lo, s0
	s_xor_b32 s0, s0, -1
	s_cbranch_vccnz .LBB29_2
; %bb.1:
	s_load_dword s10, s[10:11], 0x0
.LBB29_2:
	s_andn2_b32 vcc_lo, exec_lo, s0
	s_cbranch_vccnz .LBB29_4
; %bb.3:
	s_load_dword s8, s[8:9], 0x0
.LBB29_4:
	s_waitcnt lgkmcnt(0)
	v_cmp_neq_f32_e64 s0, s10, 0
	v_cmp_neq_f32_e64 s1, s8, 1.0
	s_mov_b32 s7, 0
	s_or_b32 s0, s0, s1
	s_andn2_b32 vcc_lo, exec_lo, s0
	s_cbranch_vccnz .LBB29_39
; %bb.5:
	s_clause 0x1
	s_load_dwordx4 s[0:3], s[4:5], 0x20
	s_load_dwordx2 s[14:15], s[4:5], 0x30
	s_waitcnt lgkmcnt(0)
	s_cmp_eq_u64 s[0:1], 0
	s_cbranch_scc1 .LBB29_7
; %bb.6:
	s_lshl_b64 s[6:7], s[6:7], 3
	s_add_u32 s0, s0, s6
	s_addc_u32 s1, s1, s7
	s_load_dwordx2 s[0:1], s[0:1], 0x0
	s_waitcnt lgkmcnt(0)
	s_sub_u32 s6, s0, s12
	s_subb_u32 s7, s1, 0
.LBB29_7:
	s_load_dword s1, s[4:5], 0x8
	v_mul_u32_u24_e32 v1, 0x3334, v0
	v_lshrrev_b32_e32 v2, 16, v1
	v_mul_lo_u16 v3, v2, 5
	s_waitcnt lgkmcnt(0)
	s_cmp_eq_u32 s1, 1
	s_cselect_b32 s0, -1, 0
	s_cmp_lg_u32 s1, 1
	s_cselect_b32 s9, -1, 0
	s_lshl_b64 s[16:17], s[6:7], 3
	s_add_u32 s2, s2, s16
	s_addc_u32 s3, s3, s17
	s_add_u32 s1, s2, 8
	s_addc_u32 s11, s3, 0
	;; [unrolled: 2-line block ×3, first 2 shown]
	s_cmp_eq_u64 s[14:15], 0
	s_cselect_b32 s17, s11, s16
	s_cselect_b32 s16, s1, s13
	s_load_dwordx2 s[14:15], s[2:3], 0x0
	s_load_dwordx2 s[16:17], s[16:17], 0x0
	s_waitcnt lgkmcnt(0)
	v_cmp_lt_i64_e64 s1, s[14:15], s[16:17]
	s_and_b32 vcc_lo, exec_lo, s1
	s_cbranch_vccnz .LBB29_9
; %bb.8:
	v_mov_b32_e32 v1, 0
	s_mov_b32 s1, 0
	s_branch .LBB29_10
.LBB29_9:
	s_mov_b32 s1, -1
.LBB29_10:
	s_load_dwordx2 s[2:3], s[4:5], 0x58
	v_sub_nc_u16 v9, v0, v3
	v_mov_b32_e32 v8, 0
	s_andn2_b32 vcc_lo, exec_lo, s1
	s_cbranch_vccnz .LBB29_15
; %bb.11:
	v_mul_lo_u16 v1, v2, 52
	v_mov_b32_e32 v3, 0xa3e
	v_and_b32_e32 v6, 0xffff, v9
	s_clause 0x1
	s_load_dwordx4 s[20:23], s[4:5], 0x38
	s_load_dwordx2 s[18:19], s[4:5], 0x48
	s_mul_i32 s5, s12, 50
	v_lshrrev_b16 v1, 8, v1
	v_mul_u32_u24_sdwa v5, v0, v3 dst_sel:DWORD dst_unused:UNUSED_PAD src0_sel:WORD_0 src1_sel:DWORD
	s_mul_hi_u32 s1, s12, 50
	s_sub_u32 s4, s16, s12
	v_mul_lo_u16 v4, v1, 5
	v_mov_b32_e32 v1, 0
	v_lshrrev_b32_e32 v10, 16, v5
	v_sub_nc_u16 v4, v2, v4
	v_lshlrev_b32_e32 v2, 1, v0
	v_mov_b32_e32 v3, v1
	v_and_b32_e32 v7, 0xff, v4
	v_mad_u64_u32 v[4:5], null, s14, 50, v[2:3]
	v_cndmask_b32_e64 v3, v6, v7, s0
	v_add_co_u32 v6, s0, s14, v10
	v_add_co_ci_u32_e64 v7, null, s15, 0, s0
	v_mov_b32_e32 v2, v5
	v_lshlrev_b32_e32 v3, 1, v3
	v_sub_co_u32 v5, vcc_lo, v6, s12
	v_subrev_co_ci_u32_e64 v6, null, 0, v7, vcc_lo
	v_mad_u64_u32 v[7:8], null, s15, 50, v[2:3]
	v_sub_co_u32 v4, vcc_lo, v4, s5
	s_waitcnt lgkmcnt(0)
	v_add_co_u32 v2, s0, s18, v3
	v_add_co_ci_u32_e64 v3, null, s19, 0, s0
	v_subrev_co_ci_u32_e64 v8, null, s1, v7, vcc_lo
	v_lshlrev_b64 v[6:7], 3, v[5:6]
	v_add_co_u32 v4, vcc_lo, s22, v4
	v_add_co_ci_u32_e64 v5, null, s23, v8, vcc_lo
	v_mov_b32_e32 v8, v1
	v_add_co_u32 v6, vcc_lo, s20, v6
	v_add_co_ci_u32_e64 v7, null, s21, v7, vcc_lo
	s_subb_u32 s5, s17, 0
	s_sub_u32 s0, s14, s12
	s_subb_u32 s1, s15, 0
	s_inst_prefetch 0x1
	s_branch .LBB29_13
	.p2align	6
.LBB29_12:                              ;   in Loop: Header=BB29_13 Depth=1
	s_or_b32 exec_lo, exec_lo, s11
	s_add_u32 s0, s0, 2
	s_addc_u32 s1, s1, 0
	v_add_co_u32 v4, vcc_lo, 0x64, v4
	v_cmp_ge_i64_e64 s11, s[0:1], s[4:5]
	v_add_co_ci_u32_e64 v5, null, 0, v5, vcc_lo
	v_add_co_u32 v6, vcc_lo, v6, 16
	v_add_co_ci_u32_e64 v7, null, 0, v7, vcc_lo
	s_and_b32 vcc_lo, exec_lo, s11
	s_cbranch_vccnz .LBB29_15
.LBB29_13:                              ; =>This Inner Loop Header: Depth=1
	v_add_co_u32 v11, s11, v10, s0
	v_add_co_ci_u32_e64 v12, null, 0, s1, s11
	s_mov_b32 s11, exec_lo
	v_cmpx_gt_i64_e64 s[4:5], v[11:12]
	s_cbranch_execz .LBB29_12
; %bb.14:                               ;   in Loop: Header=BB29_13 Depth=1
	global_load_dwordx2 v[11:12], v[6:7], off
	s_waitcnt vmcnt(0)
	v_sub_co_u32 v11, vcc_lo, v11, s12
	v_subrev_co_ci_u32_e64 v13, null, 0, v12, vcc_lo
	v_mad_u64_u32 v[11:12], null, v11, 10, v[2:3]
	v_mad_u64_u32 v[12:13], null, v13, 10, v[12:13]
	global_load_ushort v13, v[4:5], off
	global_load_ushort v11, v[11:12], off
	s_waitcnt vmcnt(1)
	v_lshlrev_b32_e32 v12, 16, v13
	s_waitcnt vmcnt(0)
	v_lshlrev_b32_e32 v11, 16, v11
	v_fmac_f32_e32 v8, v12, v11
	s_branch .LBB29_12
.LBB29_15:
	s_inst_prefetch 0x2
	v_lshlrev_b32_e32 v2, 2, v0
	s_and_b32 vcc_lo, exec_lo, s9
	ds_write_b32 v2, v8
	s_waitcnt lgkmcnt(0)
	buffer_gl0_inv
	s_cbranch_vccz .LBB29_25
; %bb.16:
	s_mov_b32 s0, exec_lo
	v_cmpx_gt_u32_e32 25, v0
	s_cbranch_execz .LBB29_18
; %bb.17:
	ds_read2_b32 v[3:4], v2 offset1:25
	s_waitcnt lgkmcnt(0)
	v_add_f32_e32 v3, v4, v3
	ds_write_b32 v2, v3
.LBB29_18:
	s_or_b32 exec_lo, exec_lo, s0
	s_mov_b32 s0, exec_lo
	s_waitcnt lgkmcnt(0)
	buffer_gl0_inv
	v_cmpx_eq_u16_e32 0, v9
	s_cbranch_execz .LBB29_20
; %bb.19:
	ds_read2_b32 v[3:4], v2 offset1:4
	s_waitcnt lgkmcnt(0)
	v_add_f32_e32 v3, v4, v3
	ds_write_b32 v2, v3
.LBB29_20:
	s_or_b32 exec_lo, exec_lo, s0
	s_mov_b32 s0, exec_lo
	s_waitcnt lgkmcnt(0)
	buffer_gl0_inv
	v_cmpx_gt_u16_e32 2, v9
	s_cbranch_execz .LBB29_22
; %bb.21:
	ds_read2_b32 v[3:4], v2 offset1:2
	s_waitcnt lgkmcnt(0)
	v_add_f32_e32 v3, v4, v3
	ds_write_b32 v2, v3
.LBB29_22:
	s_or_b32 exec_lo, exec_lo, s0
	v_mov_b32_e32 v3, v8
	s_mov_b32 s0, exec_lo
	s_waitcnt lgkmcnt(0)
	buffer_gl0_inv
	v_cmpx_gt_u32_e32 5, v0
	s_cbranch_execz .LBB29_24
; %bb.23:
	v_lshl_add_u32 v3, v0, 4, v2
	ds_read2_b32 v[3:4], v3 offset1:1
	s_waitcnt lgkmcnt(0)
	v_add_f32_e32 v3, v3, v4
.LBB29_24:
	s_or_b32 exec_lo, exec_lo, s0
	s_branch .LBB29_35
.LBB29_25:
                                        ; implicit-def: $vgpr3
	s_cbranch_execz .LBB29_35
; %bb.26:
	v_cmp_gt_u32_e32 vcc_lo, 10, v0
	s_and_saveexec_b32 s0, vcc_lo
	s_cbranch_execz .LBB29_28
; %bb.27:
	ds_read2_b32 v[3:4], v2 offset1:40
	s_waitcnt lgkmcnt(0)
	v_add_f32_e32 v3, v4, v3
	ds_write_b32 v2, v3
.LBB29_28:
	s_or_b32 exec_lo, exec_lo, s0
	s_mov_b32 s1, exec_lo
	s_waitcnt lgkmcnt(0)
	buffer_gl0_inv
	v_cmpx_gt_u32_e32 20, v0
	s_cbranch_execz .LBB29_30
; %bb.29:
	ds_read2_b32 v[3:4], v2 offset1:20
	s_waitcnt lgkmcnt(0)
	v_add_f32_e32 v3, v4, v3
	ds_write_b32 v2, v3
.LBB29_30:
	s_or_b32 exec_lo, exec_lo, s1
	s_waitcnt lgkmcnt(0)
	buffer_gl0_inv
	s_and_saveexec_b32 s0, vcc_lo
	s_cbranch_execz .LBB29_32
; %bb.31:
	ds_read2_b32 v[3:4], v2 offset1:10
	s_waitcnt lgkmcnt(0)
	v_add_f32_e32 v3, v4, v3
	ds_write_b32 v2, v3
.LBB29_32:
	s_or_b32 exec_lo, exec_lo, s0
	s_mov_b32 s0, exec_lo
	s_waitcnt lgkmcnt(0)
	buffer_gl0_inv
	v_cmpx_gt_u32_e32 5, v0
	s_cbranch_execz .LBB29_34
; %bb.33:
	ds_read2_b32 v[2:3], v2 offset1:5
	s_waitcnt lgkmcnt(0)
	v_add_f32_e32 v8, v2, v3
.LBB29_34:
	s_or_b32 exec_lo, exec_lo, s0
	v_mov_b32_e32 v3, v8
.LBB29_35:
	s_mov_b32 s0, exec_lo
	v_cmpx_gt_u32_e32 5, v0
	s_cbranch_execz .LBB29_39
; %bb.36:
	v_cmp_eq_f32_e64 s4, s8, 0
	v_lshlrev_b64 v[0:1], 2, v[0:1]
	v_mul_f32_e32 v2, s10, v3
	s_mov_b32 s1, 0
	s_mul_i32 s0, s7, 20
	s_and_b32 vcc_lo, exec_lo, s4
	s_mul_hi_u32 s4, s6, 20
	s_mul_i32 s5, s6, 20
	s_cbranch_vccz .LBB29_40
; %bb.37:
	s_add_i32 s6, s4, s0
	s_add_u32 s7, s2, s5
	s_addc_u32 s6, s3, s6
	v_add_co_u32 v3, vcc_lo, s7, v0
	v_add_co_ci_u32_e64 v4, null, s6, v1, vcc_lo
	global_store_dword v[3:4], v2, off
	s_andn2_b32 vcc_lo, exec_lo, s1
	s_cbranch_vccnz .LBB29_39
.LBB29_38:
	s_add_i32 s4, s4, s0
	s_add_u32 s0, s2, s5
	s_addc_u32 s1, s3, s4
	v_add_co_u32 v0, vcc_lo, s0, v0
	v_add_co_ci_u32_e64 v1, null, s1, v1, vcc_lo
	global_load_dword v3, v[0:1], off
	s_waitcnt vmcnt(0)
	v_fmac_f32_e32 v2, s8, v3
	global_store_dword v[0:1], v2, off
.LBB29_39:
	s_endpgm
.LBB29_40:
	s_branch .LBB29_38
	.section	.rodata,"a",@progbits
	.p2align	6, 0x0
	.amdhsa_kernel _ZN9rocsparseL18bsrxmvn_5x5_kernelILj50Efll18rocsparse_bfloat16S1_fEEvT2_20rocsparse_direction_NS_24const_host_device_scalarIT0_EES2_PKS2_PKT1_SB_S8_PKT3_PKT4_S6_PT5_21rocsparse_index_base_b
		.amdhsa_group_segment_fixed_size 200
		.amdhsa_private_segment_fixed_size 0
		.amdhsa_kernarg_size 104
		.amdhsa_user_sgpr_count 6
		.amdhsa_user_sgpr_private_segment_buffer 1
		.amdhsa_user_sgpr_dispatch_ptr 0
		.amdhsa_user_sgpr_queue_ptr 0
		.amdhsa_user_sgpr_kernarg_segment_ptr 1
		.amdhsa_user_sgpr_dispatch_id 0
		.amdhsa_user_sgpr_flat_scratch_init 0
		.amdhsa_user_sgpr_private_segment_size 0
		.amdhsa_wavefront_size32 1
		.amdhsa_uses_dynamic_stack 0
		.amdhsa_system_sgpr_private_segment_wavefront_offset 0
		.amdhsa_system_sgpr_workgroup_id_x 1
		.amdhsa_system_sgpr_workgroup_id_y 0
		.amdhsa_system_sgpr_workgroup_id_z 0
		.amdhsa_system_sgpr_workgroup_info 0
		.amdhsa_system_vgpr_workitem_id 0
		.amdhsa_next_free_vgpr 14
		.amdhsa_next_free_sgpr 24
		.amdhsa_reserve_vcc 1
		.amdhsa_reserve_flat_scratch 0
		.amdhsa_float_round_mode_32 0
		.amdhsa_float_round_mode_16_64 0
		.amdhsa_float_denorm_mode_32 3
		.amdhsa_float_denorm_mode_16_64 3
		.amdhsa_dx10_clamp 1
		.amdhsa_ieee_mode 1
		.amdhsa_fp16_overflow 0
		.amdhsa_workgroup_processor_mode 1
		.amdhsa_memory_ordered 1
		.amdhsa_forward_progress 1
		.amdhsa_shared_vgpr_count 0
		.amdhsa_exception_fp_ieee_invalid_op 0
		.amdhsa_exception_fp_denorm_src 0
		.amdhsa_exception_fp_ieee_div_zero 0
		.amdhsa_exception_fp_ieee_overflow 0
		.amdhsa_exception_fp_ieee_underflow 0
		.amdhsa_exception_fp_ieee_inexact 0
		.amdhsa_exception_int_div_zero 0
	.end_amdhsa_kernel
	.section	.text._ZN9rocsparseL18bsrxmvn_5x5_kernelILj50Efll18rocsparse_bfloat16S1_fEEvT2_20rocsparse_direction_NS_24const_host_device_scalarIT0_EES2_PKS2_PKT1_SB_S8_PKT3_PKT4_S6_PT5_21rocsparse_index_base_b,"axG",@progbits,_ZN9rocsparseL18bsrxmvn_5x5_kernelILj50Efll18rocsparse_bfloat16S1_fEEvT2_20rocsparse_direction_NS_24const_host_device_scalarIT0_EES2_PKS2_PKT1_SB_S8_PKT3_PKT4_S6_PT5_21rocsparse_index_base_b,comdat
.Lfunc_end29:
	.size	_ZN9rocsparseL18bsrxmvn_5x5_kernelILj50Efll18rocsparse_bfloat16S1_fEEvT2_20rocsparse_direction_NS_24const_host_device_scalarIT0_EES2_PKS2_PKT1_SB_S8_PKT3_PKT4_S6_PT5_21rocsparse_index_base_b, .Lfunc_end29-_ZN9rocsparseL18bsrxmvn_5x5_kernelILj50Efll18rocsparse_bfloat16S1_fEEvT2_20rocsparse_direction_NS_24const_host_device_scalarIT0_EES2_PKS2_PKT1_SB_S8_PKT3_PKT4_S6_PT5_21rocsparse_index_base_b
                                        ; -- End function
	.set _ZN9rocsparseL18bsrxmvn_5x5_kernelILj50Efll18rocsparse_bfloat16S1_fEEvT2_20rocsparse_direction_NS_24const_host_device_scalarIT0_EES2_PKS2_PKT1_SB_S8_PKT3_PKT4_S6_PT5_21rocsparse_index_base_b.num_vgpr, 14
	.set _ZN9rocsparseL18bsrxmvn_5x5_kernelILj50Efll18rocsparse_bfloat16S1_fEEvT2_20rocsparse_direction_NS_24const_host_device_scalarIT0_EES2_PKS2_PKT1_SB_S8_PKT3_PKT4_S6_PT5_21rocsparse_index_base_b.num_agpr, 0
	.set _ZN9rocsparseL18bsrxmvn_5x5_kernelILj50Efll18rocsparse_bfloat16S1_fEEvT2_20rocsparse_direction_NS_24const_host_device_scalarIT0_EES2_PKS2_PKT1_SB_S8_PKT3_PKT4_S6_PT5_21rocsparse_index_base_b.numbered_sgpr, 24
	.set _ZN9rocsparseL18bsrxmvn_5x5_kernelILj50Efll18rocsparse_bfloat16S1_fEEvT2_20rocsparse_direction_NS_24const_host_device_scalarIT0_EES2_PKS2_PKT1_SB_S8_PKT3_PKT4_S6_PT5_21rocsparse_index_base_b.num_named_barrier, 0
	.set _ZN9rocsparseL18bsrxmvn_5x5_kernelILj50Efll18rocsparse_bfloat16S1_fEEvT2_20rocsparse_direction_NS_24const_host_device_scalarIT0_EES2_PKS2_PKT1_SB_S8_PKT3_PKT4_S6_PT5_21rocsparse_index_base_b.private_seg_size, 0
	.set _ZN9rocsparseL18bsrxmvn_5x5_kernelILj50Efll18rocsparse_bfloat16S1_fEEvT2_20rocsparse_direction_NS_24const_host_device_scalarIT0_EES2_PKS2_PKT1_SB_S8_PKT3_PKT4_S6_PT5_21rocsparse_index_base_b.uses_vcc, 1
	.set _ZN9rocsparseL18bsrxmvn_5x5_kernelILj50Efll18rocsparse_bfloat16S1_fEEvT2_20rocsparse_direction_NS_24const_host_device_scalarIT0_EES2_PKS2_PKT1_SB_S8_PKT3_PKT4_S6_PT5_21rocsparse_index_base_b.uses_flat_scratch, 0
	.set _ZN9rocsparseL18bsrxmvn_5x5_kernelILj50Efll18rocsparse_bfloat16S1_fEEvT2_20rocsparse_direction_NS_24const_host_device_scalarIT0_EES2_PKS2_PKT1_SB_S8_PKT3_PKT4_S6_PT5_21rocsparse_index_base_b.has_dyn_sized_stack, 0
	.set _ZN9rocsparseL18bsrxmvn_5x5_kernelILj50Efll18rocsparse_bfloat16S1_fEEvT2_20rocsparse_direction_NS_24const_host_device_scalarIT0_EES2_PKS2_PKT1_SB_S8_PKT3_PKT4_S6_PT5_21rocsparse_index_base_b.has_recursion, 0
	.set _ZN9rocsparseL18bsrxmvn_5x5_kernelILj50Efll18rocsparse_bfloat16S1_fEEvT2_20rocsparse_direction_NS_24const_host_device_scalarIT0_EES2_PKS2_PKT1_SB_S8_PKT3_PKT4_S6_PT5_21rocsparse_index_base_b.has_indirect_call, 0
	.section	.AMDGPU.csdata,"",@progbits
; Kernel info:
; codeLenInByte = 1412
; TotalNumSgprs: 26
; NumVgprs: 14
; ScratchSize: 0
; MemoryBound: 0
; FloatMode: 240
; IeeeMode: 1
; LDSByteSize: 200 bytes/workgroup (compile time only)
; SGPRBlocks: 0
; VGPRBlocks: 1
; NumSGPRsForWavesPerEU: 26
; NumVGPRsForWavesPerEU: 14
; Occupancy: 16
; WaveLimiterHint : 1
; COMPUTE_PGM_RSRC2:SCRATCH_EN: 0
; COMPUTE_PGM_RSRC2:USER_SGPR: 6
; COMPUTE_PGM_RSRC2:TRAP_HANDLER: 0
; COMPUTE_PGM_RSRC2:TGID_X_EN: 1
; COMPUTE_PGM_RSRC2:TGID_Y_EN: 0
; COMPUTE_PGM_RSRC2:TGID_Z_EN: 0
; COMPUTE_PGM_RSRC2:TIDIG_COMP_CNT: 0
	.section	.text._ZN9rocsparseL18bsrxmvn_5x5_kernelILj50E21rocsparse_complex_numIfEiifS2_S2_EEvT2_20rocsparse_direction_NS_24const_host_device_scalarIT0_EES3_PKS3_PKT1_SC_S9_PKT3_PKT4_S7_PT5_21rocsparse_index_base_b,"axG",@progbits,_ZN9rocsparseL18bsrxmvn_5x5_kernelILj50E21rocsparse_complex_numIfEiifS2_S2_EEvT2_20rocsparse_direction_NS_24const_host_device_scalarIT0_EES3_PKS3_PKT1_SC_S9_PKT3_PKT4_S7_PT5_21rocsparse_index_base_b,comdat
	.globl	_ZN9rocsparseL18bsrxmvn_5x5_kernelILj50E21rocsparse_complex_numIfEiifS2_S2_EEvT2_20rocsparse_direction_NS_24const_host_device_scalarIT0_EES3_PKS3_PKT1_SC_S9_PKT3_PKT4_S7_PT5_21rocsparse_index_base_b ; -- Begin function _ZN9rocsparseL18bsrxmvn_5x5_kernelILj50E21rocsparse_complex_numIfEiifS2_S2_EEvT2_20rocsparse_direction_NS_24const_host_device_scalarIT0_EES3_PKS3_PKT1_SC_S9_PKT3_PKT4_S7_PT5_21rocsparse_index_base_b
	.p2align	8
	.type	_ZN9rocsparseL18bsrxmvn_5x5_kernelILj50E21rocsparse_complex_numIfEiifS2_S2_EEvT2_20rocsparse_direction_NS_24const_host_device_scalarIT0_EES3_PKS3_PKT1_SC_S9_PKT3_PKT4_S7_PT5_21rocsparse_index_base_b,@function
_ZN9rocsparseL18bsrxmvn_5x5_kernelILj50E21rocsparse_complex_numIfEiifS2_S2_EEvT2_20rocsparse_direction_NS_24const_host_device_scalarIT0_EES3_PKS3_PKT1_SC_S9_PKT3_PKT4_S7_PT5_21rocsparse_index_base_b: ; @_ZN9rocsparseL18bsrxmvn_5x5_kernelILj50E21rocsparse_complex_numIfEiifS2_S2_EEvT2_20rocsparse_direction_NS_24const_host_device_scalarIT0_EES3_PKS3_PKT1_SC_S9_PKT3_PKT4_S7_PT5_21rocsparse_index_base_b
; %bb.0:
	s_clause 0x2
	s_load_dwordx2 s[10:11], s[4:5], 0x58
	s_load_dwordx2 s[0:1], s[4:5], 0x8
	;; [unrolled: 1-line block ×3, first 2 shown]
	s_add_u32 s7, s4, 8
	s_addc_u32 s8, s5, 0
	s_add_u32 s9, s4, 0x48
	s_addc_u32 s12, s5, 0
	s_waitcnt lgkmcnt(0)
	s_bitcmp1_b32 s11, 0
	s_cselect_b32 s0, s7, s0
	s_cselect_b32 s1, s8, s1
	v_mov_b32_e32 v1, s0
	v_mov_b32_e32 v2, s1
	s_cselect_b32 s0, s9, s2
	s_cselect_b32 s1, s12, s3
	flat_load_dwordx2 v[3:4], v[1:2]
	v_mov_b32_e32 v1, s0
	v_mov_b32_e32 v2, s1
	flat_load_dwordx2 v[1:2], v[1:2]
	s_waitcnt vmcnt(1) lgkmcnt(1)
	v_cmp_eq_f32_e32 vcc_lo, 0, v3
	v_cmp_eq_f32_e64 s0, 0, v4
	s_and_b32 s2, vcc_lo, s0
	s_mov_b32 s0, -1
	s_and_saveexec_b32 s1, s2
	s_cbranch_execz .LBB30_2
; %bb.1:
	s_waitcnt vmcnt(0) lgkmcnt(0)
	v_cmp_neq_f32_e32 vcc_lo, 1.0, v1
	v_cmp_neq_f32_e64 s0, 0, v2
	s_or_b32 s0, vcc_lo, s0
	s_orn2_b32 s0, s0, exec_lo
.LBB30_2:
	s_or_b32 exec_lo, exec_lo, s1
	s_and_saveexec_b32 s1, s0
	s_cbranch_execz .LBB30_35
; %bb.3:
	s_clause 0x1
	s_load_dwordx4 s[0:3], s[4:5], 0x18
	s_load_dwordx2 s[8:9], s[4:5], 0x28
	s_waitcnt lgkmcnt(0)
	s_cmp_eq_u64 s[0:1], 0
	s_cbranch_scc1 .LBB30_5
; %bb.4:
	s_ashr_i32 s7, s6, 31
	s_lshl_b64 s[6:7], s[6:7], 2
	s_add_u32 s0, s0, s6
	s_addc_u32 s1, s1, s7
	s_load_dword s0, s[0:1], 0x0
	s_waitcnt lgkmcnt(0)
	s_sub_i32 s6, s0, s10
.LBB30_5:
	s_load_dword s0, s[4:5], 0x4
	v_mul_u32_u24_e32 v5, 0x3334, v0
	v_mov_b32_e32 v6, 0
	v_lshrrev_b32_e32 v7, 16, v5
	v_mul_lo_u16 v5, v7, 5
	v_sub_nc_u16 v12, v0, v5
	v_mov_b32_e32 v5, 0
	s_waitcnt lgkmcnt(0)
	s_cmp_eq_u32 s0, 1
	s_cselect_b32 vcc_lo, -1, 0
	s_cmp_lg_u32 s0, 1
	s_cselect_b32 s11, -1, 0
	s_ashr_i32 s7, s6, 31
	s_lshl_b64 s[0:1], s[6:7], 2
	s_add_u32 s2, s2, s0
	s_addc_u32 s3, s3, s1
	s_add_u32 s7, s2, 4
	s_addc_u32 s12, s3, 0
	;; [unrolled: 2-line block ×3, first 2 shown]
	s_cmp_eq_u64 s[8:9], 0
	s_load_dwordx2 s[8:9], s[4:5], 0x50
	s_cselect_b32 s1, s12, s1
	s_cselect_b32 s0, s7, s0
	s_load_dword s12, s[2:3], 0x0
	s_load_dword s7, s[0:1], 0x0
	s_waitcnt lgkmcnt(0)
	s_cmp_ge_i32 s12, s7
	s_cbranch_scc1 .LBB30_10
; %bb.6:
	v_mul_lo_u16 v5, v7, 52
	s_clause 0x1
	s_load_dwordx4 s[0:3], s[4:5], 0x30
	s_load_dwordx2 s[4:5], s[4:5], 0x40
	v_mov_b32_e32 v8, 0
	v_and_b32_e32 v9, 0xffff, v12
	s_mul_i32 s13, s10, 25
	v_lshrrev_b16 v5, 8, v5
	s_sub_i32 s7, s7, s10
	v_mul_lo_u16 v5, v5, 5
	v_sub_nc_u16 v7, v7, v5
	s_waitcnt vmcnt(0)
	v_mad_u64_u32 v[5:6], null, s12, 25, v[0:1]
	v_mov_b32_e32 v6, 0xa3e
	s_sub_i32 s12, s12, s10
	v_and_b32_e32 v10, 0xff, v7
	v_mul_u32_u24_sdwa v13, v0, v6 dst_sel:DWORD dst_unused:UNUSED_PAD src0_sel:WORD_0 src1_sel:DWORD
	v_mov_b32_e32 v6, v8
	v_subrev_nc_u32_e32 v7, s13, v5
	v_cndmask_b32_e32 v9, v9, v10, vcc_lo
	v_mov_b32_e32 v5, v8
	s_inst_prefetch 0x1
	s_branch .LBB30_8
	.p2align	6
.LBB30_7:                               ;   in Loop: Header=BB30_8 Depth=1
	s_or_b32 exec_lo, exec_lo, s13
	v_add_nc_u32_e32 v7, 50, v7
	s_add_i32 s12, s12, 2
	s_cmp_ge_i32 s12, s7
	s_cbranch_scc1 .LBB30_10
.LBB30_8:                               ; =>This Inner Loop Header: Depth=1
	v_add_nc_u32_sdwa v10, v13, s12 dst_sel:DWORD dst_unused:UNUSED_PAD src0_sel:WORD_1 src1_sel:DWORD
	s_mov_b32 s13, exec_lo
	v_cmpx_gt_i32_e64 s7, v10
	s_cbranch_execz .LBB30_7
; %bb.9:                                ;   in Loop: Header=BB30_8 Depth=1
	v_ashrrev_i32_e32 v11, 31, v10
	v_lshlrev_b64 v[14:15], 2, v[7:8]
	v_lshlrev_b64 v[10:11], 2, v[10:11]
	s_waitcnt lgkmcnt(0)
	v_add_co_u32 v10, vcc_lo, s0, v10
	v_add_co_ci_u32_e64 v11, null, s1, v11, vcc_lo
	v_add_co_u32 v14, vcc_lo, s2, v14
	v_add_co_ci_u32_e64 v15, null, s3, v15, vcc_lo
	global_load_dword v10, v[10:11], off
	s_waitcnt vmcnt(0)
	v_subrev_nc_u32_e32 v10, s10, v10
	v_mad_u64_u32 v[10:11], null, v10, 5, v[9:10]
	v_ashrrev_i32_e32 v11, 31, v10
	v_lshlrev_b64 v[10:11], 3, v[10:11]
	v_add_co_u32 v10, vcc_lo, s4, v10
	v_add_co_ci_u32_e64 v11, null, s5, v11, vcc_lo
	global_load_dword v14, v[14:15], off
	global_load_dwordx2 v[10:11], v[10:11], off
	s_waitcnt vmcnt(0)
	v_fmac_f32_e32 v5, v14, v10
	v_fmac_f32_e32 v6, 0, v10
	;; [unrolled: 1-line block ×4, first 2 shown]
	s_branch .LBB30_7
.LBB30_10:
	s_inst_prefetch 0x2
	v_lshlrev_b32_e32 v7, 3, v0
	s_and_b32 vcc_lo, exec_lo, s11
	ds_write_b64 v7, v[5:6]
	s_waitcnt vmcnt(0) lgkmcnt(0)
	buffer_gl0_inv
	s_cbranch_vccz .LBB30_20
; %bb.11:
	s_mov_b32 s0, exec_lo
	v_cmpx_gt_u32_e32 25, v0
	s_cbranch_execz .LBB30_13
; %bb.12:
	ds_read2_b64 v[8:11], v7 offset1:25
	s_waitcnt lgkmcnt(0)
	v_add_f32_e32 v8, v10, v8
	v_add_f32_e32 v9, v11, v9
	ds_write_b64 v7, v[8:9]
.LBB30_13:
	s_or_b32 exec_lo, exec_lo, s0
	s_mov_b32 s0, exec_lo
	s_waitcnt lgkmcnt(0)
	buffer_gl0_inv
	v_cmpx_eq_u16_e32 0, v12
	s_cbranch_execz .LBB30_15
; %bb.14:
	ds_read2_b64 v[8:11], v7 offset1:4
	s_waitcnt lgkmcnt(0)
	v_add_f32_e32 v8, v10, v8
	v_add_f32_e32 v9, v11, v9
	ds_write_b64 v7, v[8:9]
.LBB30_15:
	s_or_b32 exec_lo, exec_lo, s0
	s_mov_b32 s0, exec_lo
	s_waitcnt lgkmcnt(0)
	buffer_gl0_inv
	v_cmpx_gt_u16_e32 2, v12
	s_cbranch_execz .LBB30_17
; %bb.16:
	ds_read2_b64 v[8:11], v7 offset1:2
	s_waitcnt lgkmcnt(0)
	v_add_f32_e32 v8, v10, v8
	v_add_f32_e32 v9, v11, v9
	ds_write_b64 v7, v[8:9]
.LBB30_17:
	s_or_b32 exec_lo, exec_lo, s0
	v_mov_b32_e32 v9, v6
	v_mov_b32_e32 v8, v5
	s_mov_b32 s0, exec_lo
	s_waitcnt lgkmcnt(0)
	buffer_gl0_inv
	v_cmpx_gt_u32_e32 5, v0
	s_cbranch_execz .LBB30_19
; %bb.18:
	v_lshl_add_u32 v8, v0, 5, v7
	ds_read2_b64 v[8:11], v8 offset1:1
	s_waitcnt lgkmcnt(0)
	v_add_f32_e32 v8, v10, v8
	v_add_f32_e32 v9, v11, v9
.LBB30_19:
	s_or_b32 exec_lo, exec_lo, s0
	s_branch .LBB30_30
.LBB30_20:
                                        ; implicit-def: $vgpr9
                                        ; implicit-def: $vgpr8
	s_cbranch_execz .LBB30_30
; %bb.21:
	v_cmp_gt_u32_e32 vcc_lo, 10, v0
	s_and_saveexec_b32 s0, vcc_lo
	s_cbranch_execz .LBB30_23
; %bb.22:
	ds_read2_b64 v[8:11], v7 offset1:40
	s_waitcnt lgkmcnt(0)
	v_add_f32_e32 v8, v10, v8
	v_add_f32_e32 v9, v11, v9
	ds_write_b64 v7, v[8:9]
.LBB30_23:
	s_or_b32 exec_lo, exec_lo, s0
	s_mov_b32 s1, exec_lo
	s_waitcnt lgkmcnt(0)
	buffer_gl0_inv
	v_cmpx_gt_u32_e32 20, v0
	s_cbranch_execz .LBB30_25
; %bb.24:
	ds_read2_b64 v[8:11], v7 offset1:20
	s_waitcnt lgkmcnt(0)
	v_add_f32_e32 v8, v10, v8
	v_add_f32_e32 v9, v11, v9
	ds_write_b64 v7, v[8:9]
.LBB30_25:
	s_or_b32 exec_lo, exec_lo, s1
	s_waitcnt lgkmcnt(0)
	buffer_gl0_inv
	s_and_saveexec_b32 s0, vcc_lo
	s_cbranch_execz .LBB30_27
; %bb.26:
	ds_read2_b64 v[8:11], v7 offset1:10
	s_waitcnt lgkmcnt(0)
	v_add_f32_e32 v8, v10, v8
	v_add_f32_e32 v9, v11, v9
	ds_write_b64 v7, v[8:9]
.LBB30_27:
	s_or_b32 exec_lo, exec_lo, s0
	s_mov_b32 s0, exec_lo
	s_waitcnt lgkmcnt(0)
	buffer_gl0_inv
	v_cmpx_gt_u32_e32 5, v0
	s_cbranch_execz .LBB30_29
; %bb.28:
	ds_read2_b64 v[5:8], v7 offset1:5
	s_waitcnt lgkmcnt(0)
	v_add_f32_e32 v5, v7, v5
	v_add_f32_e32 v6, v8, v6
.LBB30_29:
	s_or_b32 exec_lo, exec_lo, s0
	v_mov_b32_e32 v9, v6
	v_mov_b32_e32 v8, v5
.LBB30_30:
	v_cmp_gt_u32_e32 vcc_lo, 5, v0
	s_and_b32 exec_lo, exec_lo, vcc_lo
	s_cbranch_execz .LBB30_35
; %bb.31:
	v_mul_f32_e64 v5, v9, -v4
	v_mul_f32_e32 v6, v3, v9
	v_cmp_eq_f32_e32 vcc_lo, 0, v1
	v_cmp_eq_f32_e64 s0, 0, v2
	v_fmac_f32_e32 v5, v3, v8
	v_fmac_f32_e32 v6, v4, v8
	s_and_b32 s0, vcc_lo, s0
	s_and_saveexec_b32 s1, s0
	s_xor_b32 s0, exec_lo, s1
	s_cbranch_execz .LBB30_33
; %bb.32:
	v_mad_u64_u32 v[0:1], null, s6, 5, v[0:1]
	v_mov_b32_e32 v1, 0
	v_lshlrev_b64 v[0:1], 3, v[0:1]
	v_add_co_u32 v0, vcc_lo, s8, v0
	v_add_co_ci_u32_e64 v1, null, s9, v1, vcc_lo
	global_store_dwordx2 v[0:1], v[5:6], off
                                        ; implicit-def: $vgpr0
                                        ; implicit-def: $vgpr1_vgpr2
                                        ; implicit-def: $vgpr5
.LBB30_33:
	s_andn2_saveexec_b32 s0, s0
	s_cbranch_execz .LBB30_35
; %bb.34:
	v_mad_u64_u32 v[3:4], null, s6, 5, v[0:1]
	v_mov_b32_e32 v4, 0
	v_lshlrev_b64 v[3:4], 3, v[3:4]
	v_add_co_u32 v3, vcc_lo, s8, v3
	v_add_co_ci_u32_e64 v4, null, s9, v4, vcc_lo
	global_load_dwordx2 v[7:8], v[3:4], off
	s_waitcnt vmcnt(0)
	v_fmac_f32_e32 v5, v1, v7
	v_fmac_f32_e32 v6, v2, v7
	v_fma_f32 v5, -v2, v8, v5
	v_fmac_f32_e32 v6, v1, v8
	global_store_dwordx2 v[3:4], v[5:6], off
.LBB30_35:
	s_endpgm
	.section	.rodata,"a",@progbits
	.p2align	6, 0x0
	.amdhsa_kernel _ZN9rocsparseL18bsrxmvn_5x5_kernelILj50E21rocsparse_complex_numIfEiifS2_S2_EEvT2_20rocsparse_direction_NS_24const_host_device_scalarIT0_EES3_PKS3_PKT1_SC_S9_PKT3_PKT4_S7_PT5_21rocsparse_index_base_b
		.amdhsa_group_segment_fixed_size 400
		.amdhsa_private_segment_fixed_size 0
		.amdhsa_kernarg_size 96
		.amdhsa_user_sgpr_count 6
		.amdhsa_user_sgpr_private_segment_buffer 1
		.amdhsa_user_sgpr_dispatch_ptr 0
		.amdhsa_user_sgpr_queue_ptr 0
		.amdhsa_user_sgpr_kernarg_segment_ptr 1
		.amdhsa_user_sgpr_dispatch_id 0
		.amdhsa_user_sgpr_flat_scratch_init 0
		.amdhsa_user_sgpr_private_segment_size 0
		.amdhsa_wavefront_size32 1
		.amdhsa_uses_dynamic_stack 0
		.amdhsa_system_sgpr_private_segment_wavefront_offset 0
		.amdhsa_system_sgpr_workgroup_id_x 1
		.amdhsa_system_sgpr_workgroup_id_y 0
		.amdhsa_system_sgpr_workgroup_id_z 0
		.amdhsa_system_sgpr_workgroup_info 0
		.amdhsa_system_vgpr_workitem_id 0
		.amdhsa_next_free_vgpr 16
		.amdhsa_next_free_sgpr 14
		.amdhsa_reserve_vcc 1
		.amdhsa_reserve_flat_scratch 0
		.amdhsa_float_round_mode_32 0
		.amdhsa_float_round_mode_16_64 0
		.amdhsa_float_denorm_mode_32 3
		.amdhsa_float_denorm_mode_16_64 3
		.amdhsa_dx10_clamp 1
		.amdhsa_ieee_mode 1
		.amdhsa_fp16_overflow 0
		.amdhsa_workgroup_processor_mode 1
		.amdhsa_memory_ordered 1
		.amdhsa_forward_progress 1
		.amdhsa_shared_vgpr_count 0
		.amdhsa_exception_fp_ieee_invalid_op 0
		.amdhsa_exception_fp_denorm_src 0
		.amdhsa_exception_fp_ieee_div_zero 0
		.amdhsa_exception_fp_ieee_overflow 0
		.amdhsa_exception_fp_ieee_underflow 0
		.amdhsa_exception_fp_ieee_inexact 0
		.amdhsa_exception_int_div_zero 0
	.end_amdhsa_kernel
	.section	.text._ZN9rocsparseL18bsrxmvn_5x5_kernelILj50E21rocsparse_complex_numIfEiifS2_S2_EEvT2_20rocsparse_direction_NS_24const_host_device_scalarIT0_EES3_PKS3_PKT1_SC_S9_PKT3_PKT4_S7_PT5_21rocsparse_index_base_b,"axG",@progbits,_ZN9rocsparseL18bsrxmvn_5x5_kernelILj50E21rocsparse_complex_numIfEiifS2_S2_EEvT2_20rocsparse_direction_NS_24const_host_device_scalarIT0_EES3_PKS3_PKT1_SC_S9_PKT3_PKT4_S7_PT5_21rocsparse_index_base_b,comdat
.Lfunc_end30:
	.size	_ZN9rocsparseL18bsrxmvn_5x5_kernelILj50E21rocsparse_complex_numIfEiifS2_S2_EEvT2_20rocsparse_direction_NS_24const_host_device_scalarIT0_EES3_PKS3_PKT1_SC_S9_PKT3_PKT4_S7_PT5_21rocsparse_index_base_b, .Lfunc_end30-_ZN9rocsparseL18bsrxmvn_5x5_kernelILj50E21rocsparse_complex_numIfEiifS2_S2_EEvT2_20rocsparse_direction_NS_24const_host_device_scalarIT0_EES3_PKS3_PKT1_SC_S9_PKT3_PKT4_S7_PT5_21rocsparse_index_base_b
                                        ; -- End function
	.set _ZN9rocsparseL18bsrxmvn_5x5_kernelILj50E21rocsparse_complex_numIfEiifS2_S2_EEvT2_20rocsparse_direction_NS_24const_host_device_scalarIT0_EES3_PKS3_PKT1_SC_S9_PKT3_PKT4_S7_PT5_21rocsparse_index_base_b.num_vgpr, 16
	.set _ZN9rocsparseL18bsrxmvn_5x5_kernelILj50E21rocsparse_complex_numIfEiifS2_S2_EEvT2_20rocsparse_direction_NS_24const_host_device_scalarIT0_EES3_PKS3_PKT1_SC_S9_PKT3_PKT4_S7_PT5_21rocsparse_index_base_b.num_agpr, 0
	.set _ZN9rocsparseL18bsrxmvn_5x5_kernelILj50E21rocsparse_complex_numIfEiifS2_S2_EEvT2_20rocsparse_direction_NS_24const_host_device_scalarIT0_EES3_PKS3_PKT1_SC_S9_PKT3_PKT4_S7_PT5_21rocsparse_index_base_b.numbered_sgpr, 14
	.set _ZN9rocsparseL18bsrxmvn_5x5_kernelILj50E21rocsparse_complex_numIfEiifS2_S2_EEvT2_20rocsparse_direction_NS_24const_host_device_scalarIT0_EES3_PKS3_PKT1_SC_S9_PKT3_PKT4_S7_PT5_21rocsparse_index_base_b.num_named_barrier, 0
	.set _ZN9rocsparseL18bsrxmvn_5x5_kernelILj50E21rocsparse_complex_numIfEiifS2_S2_EEvT2_20rocsparse_direction_NS_24const_host_device_scalarIT0_EES3_PKS3_PKT1_SC_S9_PKT3_PKT4_S7_PT5_21rocsparse_index_base_b.private_seg_size, 0
	.set _ZN9rocsparseL18bsrxmvn_5x5_kernelILj50E21rocsparse_complex_numIfEiifS2_S2_EEvT2_20rocsparse_direction_NS_24const_host_device_scalarIT0_EES3_PKS3_PKT1_SC_S9_PKT3_PKT4_S7_PT5_21rocsparse_index_base_b.uses_vcc, 1
	.set _ZN9rocsparseL18bsrxmvn_5x5_kernelILj50E21rocsparse_complex_numIfEiifS2_S2_EEvT2_20rocsparse_direction_NS_24const_host_device_scalarIT0_EES3_PKS3_PKT1_SC_S9_PKT3_PKT4_S7_PT5_21rocsparse_index_base_b.uses_flat_scratch, 0
	.set _ZN9rocsparseL18bsrxmvn_5x5_kernelILj50E21rocsparse_complex_numIfEiifS2_S2_EEvT2_20rocsparse_direction_NS_24const_host_device_scalarIT0_EES3_PKS3_PKT1_SC_S9_PKT3_PKT4_S7_PT5_21rocsparse_index_base_b.has_dyn_sized_stack, 0
	.set _ZN9rocsparseL18bsrxmvn_5x5_kernelILj50E21rocsparse_complex_numIfEiifS2_S2_EEvT2_20rocsparse_direction_NS_24const_host_device_scalarIT0_EES3_PKS3_PKT1_SC_S9_PKT3_PKT4_S7_PT5_21rocsparse_index_base_b.has_recursion, 0
	.set _ZN9rocsparseL18bsrxmvn_5x5_kernelILj50E21rocsparse_complex_numIfEiifS2_S2_EEvT2_20rocsparse_direction_NS_24const_host_device_scalarIT0_EES3_PKS3_PKT1_SC_S9_PKT3_PKT4_S7_PT5_21rocsparse_index_base_b.has_indirect_call, 0
	.section	.AMDGPU.csdata,"",@progbits
; Kernel info:
; codeLenInByte = 1436
; TotalNumSgprs: 16
; NumVgprs: 16
; ScratchSize: 0
; MemoryBound: 0
; FloatMode: 240
; IeeeMode: 1
; LDSByteSize: 400 bytes/workgroup (compile time only)
; SGPRBlocks: 0
; VGPRBlocks: 1
; NumSGPRsForWavesPerEU: 16
; NumVGPRsForWavesPerEU: 16
; Occupancy: 16
; WaveLimiterHint : 1
; COMPUTE_PGM_RSRC2:SCRATCH_EN: 0
; COMPUTE_PGM_RSRC2:USER_SGPR: 6
; COMPUTE_PGM_RSRC2:TRAP_HANDLER: 0
; COMPUTE_PGM_RSRC2:TGID_X_EN: 1
; COMPUTE_PGM_RSRC2:TGID_Y_EN: 0
; COMPUTE_PGM_RSRC2:TGID_Z_EN: 0
; COMPUTE_PGM_RSRC2:TIDIG_COMP_CNT: 0
	.section	.text._ZN9rocsparseL18bsrxmvn_5x5_kernelILj50E21rocsparse_complex_numIfElifS2_S2_EEvT2_20rocsparse_direction_NS_24const_host_device_scalarIT0_EES3_PKS3_PKT1_SC_S9_PKT3_PKT4_S7_PT5_21rocsparse_index_base_b,"axG",@progbits,_ZN9rocsparseL18bsrxmvn_5x5_kernelILj50E21rocsparse_complex_numIfElifS2_S2_EEvT2_20rocsparse_direction_NS_24const_host_device_scalarIT0_EES3_PKS3_PKT1_SC_S9_PKT3_PKT4_S7_PT5_21rocsparse_index_base_b,comdat
	.globl	_ZN9rocsparseL18bsrxmvn_5x5_kernelILj50E21rocsparse_complex_numIfElifS2_S2_EEvT2_20rocsparse_direction_NS_24const_host_device_scalarIT0_EES3_PKS3_PKT1_SC_S9_PKT3_PKT4_S7_PT5_21rocsparse_index_base_b ; -- Begin function _ZN9rocsparseL18bsrxmvn_5x5_kernelILj50E21rocsparse_complex_numIfElifS2_S2_EEvT2_20rocsparse_direction_NS_24const_host_device_scalarIT0_EES3_PKS3_PKT1_SC_S9_PKT3_PKT4_S7_PT5_21rocsparse_index_base_b
	.p2align	8
	.type	_ZN9rocsparseL18bsrxmvn_5x5_kernelILj50E21rocsparse_complex_numIfElifS2_S2_EEvT2_20rocsparse_direction_NS_24const_host_device_scalarIT0_EES3_PKS3_PKT1_SC_S9_PKT3_PKT4_S7_PT5_21rocsparse_index_base_b,@function
_ZN9rocsparseL18bsrxmvn_5x5_kernelILj50E21rocsparse_complex_numIfElifS2_S2_EEvT2_20rocsparse_direction_NS_24const_host_device_scalarIT0_EES3_PKS3_PKT1_SC_S9_PKT3_PKT4_S7_PT5_21rocsparse_index_base_b: ; @_ZN9rocsparseL18bsrxmvn_5x5_kernelILj50E21rocsparse_complex_numIfElifS2_S2_EEvT2_20rocsparse_direction_NS_24const_host_device_scalarIT0_EES3_PKS3_PKT1_SC_S9_PKT3_PKT4_S7_PT5_21rocsparse_index_base_b
; %bb.0:
	s_clause 0x2
	s_load_dwordx2 s[8:9], s[4:5], 0x58
	s_load_dwordx2 s[0:1], s[4:5], 0x8
	;; [unrolled: 1-line block ×3, first 2 shown]
	s_add_u32 s7, s4, 8
	s_addc_u32 s10, s5, 0
	s_add_u32 s11, s4, 0x48
	s_addc_u32 s12, s5, 0
	s_waitcnt lgkmcnt(0)
	s_bitcmp1_b32 s9, 0
	s_cselect_b32 s0, s7, s0
	s_cselect_b32 s1, s10, s1
	v_mov_b32_e32 v1, s0
	v_mov_b32_e32 v2, s1
	s_cselect_b32 s0, s11, s2
	s_cselect_b32 s1, s12, s3
	flat_load_dwordx2 v[3:4], v[1:2]
	v_mov_b32_e32 v1, s0
	v_mov_b32_e32 v2, s1
	flat_load_dwordx2 v[1:2], v[1:2]
	s_waitcnt vmcnt(1) lgkmcnt(1)
	v_cmp_eq_f32_e32 vcc_lo, 0, v3
	v_cmp_eq_f32_e64 s0, 0, v4
	s_and_b32 s2, vcc_lo, s0
	s_mov_b32 s0, -1
	s_and_saveexec_b32 s1, s2
	s_cbranch_execz .LBB31_2
; %bb.1:
	s_waitcnt vmcnt(0) lgkmcnt(0)
	v_cmp_neq_f32_e32 vcc_lo, 1.0, v1
	v_cmp_neq_f32_e64 s0, 0, v2
	s_or_b32 s0, vcc_lo, s0
	s_orn2_b32 s0, s0, exec_lo
.LBB31_2:
	s_or_b32 exec_lo, exec_lo, s1
	s_and_saveexec_b32 s1, s0
	s_cbranch_execz .LBB31_35
; %bb.3:
	s_clause 0x1
	s_load_dwordx4 s[0:3], s[4:5], 0x18
	s_load_dwordx2 s[10:11], s[4:5], 0x28
	s_waitcnt lgkmcnt(0)
	s_cmp_eq_u64 s[0:1], 0
	s_cbranch_scc1 .LBB31_5
; %bb.4:
	s_ashr_i32 s7, s6, 31
	s_lshl_b64 s[6:7], s[6:7], 2
	s_add_u32 s0, s0, s6
	s_addc_u32 s1, s1, s7
	s_load_dword s0, s[0:1], 0x0
	s_waitcnt lgkmcnt(0)
	s_sub_i32 s6, s0, s8
.LBB31_5:
	s_load_dword s1, s[4:5], 0x4
	v_mul_u32_u24_e32 v5, 0x3334, v0
	v_mov_b32_e32 v6, 0
	v_lshrrev_b32_e32 v7, 16, v5
	v_mul_lo_u16 v5, v7, 5
	v_sub_nc_u16 v12, v0, v5
	v_mov_b32_e32 v5, 0
	s_waitcnt lgkmcnt(0)
	s_cmp_eq_u32 s1, 1
	s_cselect_b32 s0, -1, 0
	s_cmp_lg_u32 s1, 1
	s_cselect_b32 s9, -1, 0
	s_ashr_i32 s7, s6, 31
	s_lshl_b64 s[12:13], s[6:7], 3
	s_add_u32 s2, s2, s12
	s_addc_u32 s3, s3, s13
	s_add_u32 s1, s2, 8
	s_addc_u32 s7, s3, 0
	;; [unrolled: 2-line block ×3, first 2 shown]
	s_cmp_eq_u64 s[10:11], 0
	s_cselect_b32 s11, s7, s13
	s_cselect_b32 s10, s1, s12
	s_load_dwordx2 s[12:13], s[2:3], 0x0
	s_load_dwordx2 s[10:11], s[10:11], 0x0
	;; [unrolled: 1-line block ×3, first 2 shown]
	s_waitcnt lgkmcnt(0)
	v_cmp_ge_i64_e64 s1, s[12:13], s[10:11]
	s_and_b32 vcc_lo, exec_lo, s1
	s_cbranch_vccnz .LBB31_10
; %bb.6:
	v_mul_lo_u16 v5, v7, 52
	v_mov_b32_e32 v10, 0xa3e
	v_mov_b32_e32 v6, 0
	s_clause 0x1
	s_load_dwordx4 s[16:19], s[4:5], 0x30
	s_load_dwordx2 s[4:5], s[4:5], 0x40
	s_mul_i32 s7, s8, 0x64
	v_lshrrev_b16 v8, 8, v5
	v_lshlrev_b32_e32 v5, 2, v0
	s_mul_hi_u32 s1, s8, 0x64
	v_and_b32_e32 v14, 0xffff, v12
	s_sub_u32 s10, s10, s8
	v_mul_lo_u16 v11, v8, 5
	v_mad_u64_u32 v[8:9], null, 0x64, s12, v[5:6]
	v_mul_u32_u24_sdwa v5, v0, v10 dst_sel:DWORD dst_unused:UNUSED_PAD src0_sel:WORD_0 src1_sel:DWORD
	s_subb_u32 s11, s11, 0
	v_sub_nc_u16 v7, v7, v11
	v_lshrrev_b32_e32 v13, 16, v5
	v_mov_b32_e32 v5, v9
	v_and_b32_e32 v7, 0xff, v7
	v_add_co_u32 v11, s14, s12, v13
	v_add_co_ci_u32_e64 v15, null, s13, 0, s14
	v_mad_u64_u32 v[9:10], null, 0x64, s13, v[5:6]
	v_sub_co_u32 v10, vcc_lo, v11, s8
	v_subrev_co_ci_u32_e64 v11, null, 0, v15, vcc_lo
	v_sub_co_u32 v5, vcc_lo, v8, s7
	v_subrev_co_ci_u32_e64 v9, null, s1, v9, vcc_lo
	v_lshlrev_b64 v[10:11], 2, v[10:11]
	s_waitcnt lgkmcnt(0)
	v_add_co_u32 v8, vcc_lo, s18, v5
	v_add_co_ci_u32_e64 v9, null, s19, v9, vcc_lo
	v_cndmask_b32_e64 v7, v14, v7, s0
	v_add_co_u32 v10, vcc_lo, s16, v10
	v_add_co_ci_u32_e64 v11, null, s17, v11, vcc_lo
	v_mov_b32_e32 v5, v6
	s_sub_u32 s0, s12, s8
	s_subb_u32 s1, s13, 0
	s_inst_prefetch 0x1
	s_branch .LBB31_8
	.p2align	6
.LBB31_7:                               ;   in Loop: Header=BB31_8 Depth=1
	s_or_b32 exec_lo, exec_lo, s7
	s_add_u32 s0, s0, 2
	s_addc_u32 s1, s1, 0
	v_add_co_u32 v8, vcc_lo, 0xc8, v8
	v_cmp_ge_i64_e64 s7, s[0:1], s[10:11]
	v_add_co_ci_u32_e64 v9, null, 0, v9, vcc_lo
	v_add_co_u32 v10, vcc_lo, v10, 8
	v_add_co_ci_u32_e64 v11, null, 0, v11, vcc_lo
	s_and_b32 vcc_lo, exec_lo, s7
	s_cbranch_vccnz .LBB31_10
.LBB31_8:                               ; =>This Inner Loop Header: Depth=1
	v_add_co_u32 v14, s7, v13, s0
	v_add_co_ci_u32_e64 v15, null, 0, s1, s7
	s_mov_b32 s7, exec_lo
	v_cmpx_gt_i64_e64 s[10:11], v[14:15]
	s_cbranch_execz .LBB31_7
; %bb.9:                                ;   in Loop: Header=BB31_8 Depth=1
	global_load_dword v14, v[10:11], off
	s_waitcnt vmcnt(0)
	v_subrev_nc_u32_e32 v14, s8, v14
	v_mad_u64_u32 v[14:15], null, v14, 5, v[7:8]
	v_ashrrev_i32_e32 v15, 31, v14
	v_lshlrev_b64 v[14:15], 3, v[14:15]
	v_add_co_u32 v14, vcc_lo, s4, v14
	v_add_co_ci_u32_e64 v15, null, s5, v15, vcc_lo
	global_load_dword v16, v[8:9], off
	global_load_dwordx2 v[14:15], v[14:15], off
	s_waitcnt vmcnt(0)
	v_fmac_f32_e32 v5, v16, v14
	v_fmac_f32_e32 v6, 0, v14
	;; [unrolled: 1-line block ×4, first 2 shown]
	s_branch .LBB31_7
.LBB31_10:
	s_inst_prefetch 0x2
	v_lshlrev_b32_e32 v7, 3, v0
	s_and_b32 vcc_lo, exec_lo, s9
	ds_write_b64 v7, v[5:6]
	s_waitcnt vmcnt(0) lgkmcnt(0)
	buffer_gl0_inv
	s_cbranch_vccz .LBB31_20
; %bb.11:
	s_mov_b32 s0, exec_lo
	v_cmpx_gt_u32_e32 25, v0
	s_cbranch_execz .LBB31_13
; %bb.12:
	ds_read2_b64 v[8:11], v7 offset1:25
	s_waitcnt lgkmcnt(0)
	v_add_f32_e32 v8, v10, v8
	v_add_f32_e32 v9, v11, v9
	ds_write_b64 v7, v[8:9]
.LBB31_13:
	s_or_b32 exec_lo, exec_lo, s0
	s_mov_b32 s0, exec_lo
	s_waitcnt lgkmcnt(0)
	buffer_gl0_inv
	v_cmpx_eq_u16_e32 0, v12
	s_cbranch_execz .LBB31_15
; %bb.14:
	ds_read2_b64 v[8:11], v7 offset1:4
	s_waitcnt lgkmcnt(0)
	v_add_f32_e32 v8, v10, v8
	v_add_f32_e32 v9, v11, v9
	ds_write_b64 v7, v[8:9]
.LBB31_15:
	s_or_b32 exec_lo, exec_lo, s0
	s_mov_b32 s0, exec_lo
	s_waitcnt lgkmcnt(0)
	buffer_gl0_inv
	v_cmpx_gt_u16_e32 2, v12
	s_cbranch_execz .LBB31_17
; %bb.16:
	ds_read2_b64 v[8:11], v7 offset1:2
	s_waitcnt lgkmcnt(0)
	v_add_f32_e32 v8, v10, v8
	v_add_f32_e32 v9, v11, v9
	ds_write_b64 v7, v[8:9]
.LBB31_17:
	s_or_b32 exec_lo, exec_lo, s0
	v_mov_b32_e32 v9, v6
	v_mov_b32_e32 v8, v5
	s_mov_b32 s0, exec_lo
	s_waitcnt lgkmcnt(0)
	buffer_gl0_inv
	v_cmpx_gt_u32_e32 5, v0
	s_cbranch_execz .LBB31_19
; %bb.18:
	v_lshl_add_u32 v8, v0, 5, v7
	ds_read2_b64 v[8:11], v8 offset1:1
	s_waitcnt lgkmcnt(0)
	v_add_f32_e32 v8, v10, v8
	v_add_f32_e32 v9, v11, v9
.LBB31_19:
	s_or_b32 exec_lo, exec_lo, s0
	s_branch .LBB31_30
.LBB31_20:
                                        ; implicit-def: $vgpr9
                                        ; implicit-def: $vgpr8
	s_cbranch_execz .LBB31_30
; %bb.21:
	v_cmp_gt_u32_e32 vcc_lo, 10, v0
	s_and_saveexec_b32 s0, vcc_lo
	s_cbranch_execz .LBB31_23
; %bb.22:
	ds_read2_b64 v[8:11], v7 offset1:40
	s_waitcnt lgkmcnt(0)
	v_add_f32_e32 v8, v10, v8
	v_add_f32_e32 v9, v11, v9
	ds_write_b64 v7, v[8:9]
.LBB31_23:
	s_or_b32 exec_lo, exec_lo, s0
	s_mov_b32 s1, exec_lo
	s_waitcnt lgkmcnt(0)
	buffer_gl0_inv
	v_cmpx_gt_u32_e32 20, v0
	s_cbranch_execz .LBB31_25
; %bb.24:
	ds_read2_b64 v[8:11], v7 offset1:20
	s_waitcnt lgkmcnt(0)
	v_add_f32_e32 v8, v10, v8
	v_add_f32_e32 v9, v11, v9
	ds_write_b64 v7, v[8:9]
.LBB31_25:
	s_or_b32 exec_lo, exec_lo, s1
	s_waitcnt lgkmcnt(0)
	buffer_gl0_inv
	s_and_saveexec_b32 s0, vcc_lo
	s_cbranch_execz .LBB31_27
; %bb.26:
	ds_read2_b64 v[8:11], v7 offset1:10
	s_waitcnt lgkmcnt(0)
	v_add_f32_e32 v8, v10, v8
	v_add_f32_e32 v9, v11, v9
	ds_write_b64 v7, v[8:9]
.LBB31_27:
	s_or_b32 exec_lo, exec_lo, s0
	s_mov_b32 s0, exec_lo
	s_waitcnt lgkmcnt(0)
	buffer_gl0_inv
	v_cmpx_gt_u32_e32 5, v0
	s_cbranch_execz .LBB31_29
; %bb.28:
	ds_read2_b64 v[5:8], v7 offset1:5
	s_waitcnt lgkmcnt(0)
	v_add_f32_e32 v5, v7, v5
	v_add_f32_e32 v6, v8, v6
.LBB31_29:
	s_or_b32 exec_lo, exec_lo, s0
	v_mov_b32_e32 v9, v6
	v_mov_b32_e32 v8, v5
.LBB31_30:
	v_cmp_gt_u32_e32 vcc_lo, 5, v0
	s_and_b32 exec_lo, exec_lo, vcc_lo
	s_cbranch_execz .LBB31_35
; %bb.31:
	v_mul_f32_e64 v5, v9, -v4
	v_mul_f32_e32 v6, v3, v9
	v_cmp_eq_f32_e32 vcc_lo, 0, v1
	v_cmp_eq_f32_e64 s0, 0, v2
	v_fmac_f32_e32 v5, v3, v8
	v_fmac_f32_e32 v6, v4, v8
	s_and_b32 s0, vcc_lo, s0
	s_and_saveexec_b32 s1, s0
	s_xor_b32 s0, exec_lo, s1
	s_cbranch_execz .LBB31_33
; %bb.32:
	v_mad_u64_u32 v[0:1], null, s6, 5, v[0:1]
	v_mov_b32_e32 v1, 0
	v_lshlrev_b64 v[0:1], 3, v[0:1]
	v_add_co_u32 v0, vcc_lo, s2, v0
	v_add_co_ci_u32_e64 v1, null, s3, v1, vcc_lo
	global_store_dwordx2 v[0:1], v[5:6], off
                                        ; implicit-def: $vgpr0
                                        ; implicit-def: $vgpr1_vgpr2
                                        ; implicit-def: $vgpr5
.LBB31_33:
	s_andn2_saveexec_b32 s0, s0
	s_cbranch_execz .LBB31_35
; %bb.34:
	v_mad_u64_u32 v[3:4], null, s6, 5, v[0:1]
	v_mov_b32_e32 v4, 0
	v_lshlrev_b64 v[3:4], 3, v[3:4]
	v_add_co_u32 v3, vcc_lo, s2, v3
	v_add_co_ci_u32_e64 v4, null, s3, v4, vcc_lo
	global_load_dwordx2 v[7:8], v[3:4], off
	s_waitcnt vmcnt(0)
	v_fmac_f32_e32 v5, v1, v7
	v_fmac_f32_e32 v6, v2, v7
	v_fma_f32 v5, -v2, v8, v5
	v_fmac_f32_e32 v6, v1, v8
	global_store_dwordx2 v[3:4], v[5:6], off
.LBB31_35:
	s_endpgm
	.section	.rodata,"a",@progbits
	.p2align	6, 0x0
	.amdhsa_kernel _ZN9rocsparseL18bsrxmvn_5x5_kernelILj50E21rocsparse_complex_numIfElifS2_S2_EEvT2_20rocsparse_direction_NS_24const_host_device_scalarIT0_EES3_PKS3_PKT1_SC_S9_PKT3_PKT4_S7_PT5_21rocsparse_index_base_b
		.amdhsa_group_segment_fixed_size 400
		.amdhsa_private_segment_fixed_size 0
		.amdhsa_kernarg_size 96
		.amdhsa_user_sgpr_count 6
		.amdhsa_user_sgpr_private_segment_buffer 1
		.amdhsa_user_sgpr_dispatch_ptr 0
		.amdhsa_user_sgpr_queue_ptr 0
		.amdhsa_user_sgpr_kernarg_segment_ptr 1
		.amdhsa_user_sgpr_dispatch_id 0
		.amdhsa_user_sgpr_flat_scratch_init 0
		.amdhsa_user_sgpr_private_segment_size 0
		.amdhsa_wavefront_size32 1
		.amdhsa_uses_dynamic_stack 0
		.amdhsa_system_sgpr_private_segment_wavefront_offset 0
		.amdhsa_system_sgpr_workgroup_id_x 1
		.amdhsa_system_sgpr_workgroup_id_y 0
		.amdhsa_system_sgpr_workgroup_id_z 0
		.amdhsa_system_sgpr_workgroup_info 0
		.amdhsa_system_vgpr_workitem_id 0
		.amdhsa_next_free_vgpr 17
		.amdhsa_next_free_sgpr 20
		.amdhsa_reserve_vcc 1
		.amdhsa_reserve_flat_scratch 0
		.amdhsa_float_round_mode_32 0
		.amdhsa_float_round_mode_16_64 0
		.amdhsa_float_denorm_mode_32 3
		.amdhsa_float_denorm_mode_16_64 3
		.amdhsa_dx10_clamp 1
		.amdhsa_ieee_mode 1
		.amdhsa_fp16_overflow 0
		.amdhsa_workgroup_processor_mode 1
		.amdhsa_memory_ordered 1
		.amdhsa_forward_progress 1
		.amdhsa_shared_vgpr_count 0
		.amdhsa_exception_fp_ieee_invalid_op 0
		.amdhsa_exception_fp_denorm_src 0
		.amdhsa_exception_fp_ieee_div_zero 0
		.amdhsa_exception_fp_ieee_overflow 0
		.amdhsa_exception_fp_ieee_underflow 0
		.amdhsa_exception_fp_ieee_inexact 0
		.amdhsa_exception_int_div_zero 0
	.end_amdhsa_kernel
	.section	.text._ZN9rocsparseL18bsrxmvn_5x5_kernelILj50E21rocsparse_complex_numIfElifS2_S2_EEvT2_20rocsparse_direction_NS_24const_host_device_scalarIT0_EES3_PKS3_PKT1_SC_S9_PKT3_PKT4_S7_PT5_21rocsparse_index_base_b,"axG",@progbits,_ZN9rocsparseL18bsrxmvn_5x5_kernelILj50E21rocsparse_complex_numIfElifS2_S2_EEvT2_20rocsparse_direction_NS_24const_host_device_scalarIT0_EES3_PKS3_PKT1_SC_S9_PKT3_PKT4_S7_PT5_21rocsparse_index_base_b,comdat
.Lfunc_end31:
	.size	_ZN9rocsparseL18bsrxmvn_5x5_kernelILj50E21rocsparse_complex_numIfElifS2_S2_EEvT2_20rocsparse_direction_NS_24const_host_device_scalarIT0_EES3_PKS3_PKT1_SC_S9_PKT3_PKT4_S7_PT5_21rocsparse_index_base_b, .Lfunc_end31-_ZN9rocsparseL18bsrxmvn_5x5_kernelILj50E21rocsparse_complex_numIfElifS2_S2_EEvT2_20rocsparse_direction_NS_24const_host_device_scalarIT0_EES3_PKS3_PKT1_SC_S9_PKT3_PKT4_S7_PT5_21rocsparse_index_base_b
                                        ; -- End function
	.set _ZN9rocsparseL18bsrxmvn_5x5_kernelILj50E21rocsparse_complex_numIfElifS2_S2_EEvT2_20rocsparse_direction_NS_24const_host_device_scalarIT0_EES3_PKS3_PKT1_SC_S9_PKT3_PKT4_S7_PT5_21rocsparse_index_base_b.num_vgpr, 17
	.set _ZN9rocsparseL18bsrxmvn_5x5_kernelILj50E21rocsparse_complex_numIfElifS2_S2_EEvT2_20rocsparse_direction_NS_24const_host_device_scalarIT0_EES3_PKS3_PKT1_SC_S9_PKT3_PKT4_S7_PT5_21rocsparse_index_base_b.num_agpr, 0
	.set _ZN9rocsparseL18bsrxmvn_5x5_kernelILj50E21rocsparse_complex_numIfElifS2_S2_EEvT2_20rocsparse_direction_NS_24const_host_device_scalarIT0_EES3_PKS3_PKT1_SC_S9_PKT3_PKT4_S7_PT5_21rocsparse_index_base_b.numbered_sgpr, 20
	.set _ZN9rocsparseL18bsrxmvn_5x5_kernelILj50E21rocsparse_complex_numIfElifS2_S2_EEvT2_20rocsparse_direction_NS_24const_host_device_scalarIT0_EES3_PKS3_PKT1_SC_S9_PKT3_PKT4_S7_PT5_21rocsparse_index_base_b.num_named_barrier, 0
	.set _ZN9rocsparseL18bsrxmvn_5x5_kernelILj50E21rocsparse_complex_numIfElifS2_S2_EEvT2_20rocsparse_direction_NS_24const_host_device_scalarIT0_EES3_PKS3_PKT1_SC_S9_PKT3_PKT4_S7_PT5_21rocsparse_index_base_b.private_seg_size, 0
	.set _ZN9rocsparseL18bsrxmvn_5x5_kernelILj50E21rocsparse_complex_numIfElifS2_S2_EEvT2_20rocsparse_direction_NS_24const_host_device_scalarIT0_EES3_PKS3_PKT1_SC_S9_PKT3_PKT4_S7_PT5_21rocsparse_index_base_b.uses_vcc, 1
	.set _ZN9rocsparseL18bsrxmvn_5x5_kernelILj50E21rocsparse_complex_numIfElifS2_S2_EEvT2_20rocsparse_direction_NS_24const_host_device_scalarIT0_EES3_PKS3_PKT1_SC_S9_PKT3_PKT4_S7_PT5_21rocsparse_index_base_b.uses_flat_scratch, 0
	.set _ZN9rocsparseL18bsrxmvn_5x5_kernelILj50E21rocsparse_complex_numIfElifS2_S2_EEvT2_20rocsparse_direction_NS_24const_host_device_scalarIT0_EES3_PKS3_PKT1_SC_S9_PKT3_PKT4_S7_PT5_21rocsparse_index_base_b.has_dyn_sized_stack, 0
	.set _ZN9rocsparseL18bsrxmvn_5x5_kernelILj50E21rocsparse_complex_numIfElifS2_S2_EEvT2_20rocsparse_direction_NS_24const_host_device_scalarIT0_EES3_PKS3_PKT1_SC_S9_PKT3_PKT4_S7_PT5_21rocsparse_index_base_b.has_recursion, 0
	.set _ZN9rocsparseL18bsrxmvn_5x5_kernelILj50E21rocsparse_complex_numIfElifS2_S2_EEvT2_20rocsparse_direction_NS_24const_host_device_scalarIT0_EES3_PKS3_PKT1_SC_S9_PKT3_PKT4_S7_PT5_21rocsparse_index_base_b.has_indirect_call, 0
	.section	.AMDGPU.csdata,"",@progbits
; Kernel info:
; codeLenInByte = 1560
; TotalNumSgprs: 22
; NumVgprs: 17
; ScratchSize: 0
; MemoryBound: 0
; FloatMode: 240
; IeeeMode: 1
; LDSByteSize: 400 bytes/workgroup (compile time only)
; SGPRBlocks: 0
; VGPRBlocks: 2
; NumSGPRsForWavesPerEU: 22
; NumVGPRsForWavesPerEU: 17
; Occupancy: 16
; WaveLimiterHint : 1
; COMPUTE_PGM_RSRC2:SCRATCH_EN: 0
; COMPUTE_PGM_RSRC2:USER_SGPR: 6
; COMPUTE_PGM_RSRC2:TRAP_HANDLER: 0
; COMPUTE_PGM_RSRC2:TGID_X_EN: 1
; COMPUTE_PGM_RSRC2:TGID_Y_EN: 0
; COMPUTE_PGM_RSRC2:TGID_Z_EN: 0
; COMPUTE_PGM_RSRC2:TIDIG_COMP_CNT: 0
	.section	.text._ZN9rocsparseL18bsrxmvn_5x5_kernelILj50E21rocsparse_complex_numIfEllfS2_S2_EEvT2_20rocsparse_direction_NS_24const_host_device_scalarIT0_EES3_PKS3_PKT1_SC_S9_PKT3_PKT4_S7_PT5_21rocsparse_index_base_b,"axG",@progbits,_ZN9rocsparseL18bsrxmvn_5x5_kernelILj50E21rocsparse_complex_numIfEllfS2_S2_EEvT2_20rocsparse_direction_NS_24const_host_device_scalarIT0_EES3_PKS3_PKT1_SC_S9_PKT3_PKT4_S7_PT5_21rocsparse_index_base_b,comdat
	.globl	_ZN9rocsparseL18bsrxmvn_5x5_kernelILj50E21rocsparse_complex_numIfEllfS2_S2_EEvT2_20rocsparse_direction_NS_24const_host_device_scalarIT0_EES3_PKS3_PKT1_SC_S9_PKT3_PKT4_S7_PT5_21rocsparse_index_base_b ; -- Begin function _ZN9rocsparseL18bsrxmvn_5x5_kernelILj50E21rocsparse_complex_numIfEllfS2_S2_EEvT2_20rocsparse_direction_NS_24const_host_device_scalarIT0_EES3_PKS3_PKT1_SC_S9_PKT3_PKT4_S7_PT5_21rocsparse_index_base_b
	.p2align	8
	.type	_ZN9rocsparseL18bsrxmvn_5x5_kernelILj50E21rocsparse_complex_numIfEllfS2_S2_EEvT2_20rocsparse_direction_NS_24const_host_device_scalarIT0_EES3_PKS3_PKT1_SC_S9_PKT3_PKT4_S7_PT5_21rocsparse_index_base_b,@function
_ZN9rocsparseL18bsrxmvn_5x5_kernelILj50E21rocsparse_complex_numIfEllfS2_S2_EEvT2_20rocsparse_direction_NS_24const_host_device_scalarIT0_EES3_PKS3_PKT1_SC_S9_PKT3_PKT4_S7_PT5_21rocsparse_index_base_b: ; @_ZN9rocsparseL18bsrxmvn_5x5_kernelILj50E21rocsparse_complex_numIfEllfS2_S2_EEvT2_20rocsparse_direction_NS_24const_host_device_scalarIT0_EES3_PKS3_PKT1_SC_S9_PKT3_PKT4_S7_PT5_21rocsparse_index_base_b
; %bb.0:
	s_clause 0x2
	s_load_dwordx2 s[8:9], s[4:5], 0x60
	s_load_dwordx2 s[0:1], s[4:5], 0x10
	;; [unrolled: 1-line block ×3, first 2 shown]
	s_add_u32 s7, s4, 16
	s_addc_u32 s10, s5, 0
	s_add_u32 s11, s4, 0x50
	s_addc_u32 s12, s5, 0
	s_waitcnt lgkmcnt(0)
	s_bitcmp1_b32 s9, 0
	s_cselect_b32 s0, s7, s0
	s_cselect_b32 s1, s10, s1
	v_mov_b32_e32 v1, s0
	v_mov_b32_e32 v2, s1
	s_cselect_b32 s0, s11, s2
	s_cselect_b32 s1, s12, s3
	flat_load_dwordx2 v[4:5], v[1:2]
	v_mov_b32_e32 v1, s0
	v_mov_b32_e32 v2, s1
	flat_load_dwordx2 v[2:3], v[1:2]
	s_waitcnt vmcnt(1) lgkmcnt(1)
	v_cmp_eq_f32_e32 vcc_lo, 0, v4
	v_cmp_eq_f32_e64 s0, 0, v5
	s_and_b32 s2, vcc_lo, s0
	s_mov_b32 s0, -1
	s_and_saveexec_b32 s1, s2
	s_cbranch_execz .LBB32_2
; %bb.1:
	s_waitcnt vmcnt(0) lgkmcnt(0)
	v_cmp_neq_f32_e32 vcc_lo, 1.0, v2
	v_cmp_neq_f32_e64 s0, 0, v3
	s_or_b32 s0, vcc_lo, s0
	s_orn2_b32 s0, s0, exec_lo
.LBB32_2:
	s_or_b32 exec_lo, exec_lo, s1
	s_and_saveexec_b32 s1, s0
	s_cbranch_execz .LBB32_38
; %bb.3:
	s_clause 0x1
	s_load_dwordx4 s[0:3], s[4:5], 0x20
	s_load_dwordx2 s[10:11], s[4:5], 0x30
	s_mov_b32 s7, 0
	s_waitcnt lgkmcnt(0)
	s_cmp_eq_u64 s[0:1], 0
	s_cbranch_scc1 .LBB32_5
; %bb.4:
	s_lshl_b64 s[6:7], s[6:7], 3
	s_add_u32 s0, s0, s6
	s_addc_u32 s1, s1, s7
	s_load_dwordx2 s[0:1], s[0:1], 0x0
	s_waitcnt lgkmcnt(0)
	s_sub_u32 s6, s0, s8
	s_subb_u32 s7, s1, 0
.LBB32_5:
	s_load_dword s1, s[4:5], 0x8
	v_mul_u32_u24_e32 v1, 0x3334, v0
	v_lshrrev_b32_e32 v8, 16, v1
	v_mul_lo_u16 v6, v8, 5
	s_waitcnt lgkmcnt(0)
	s_cmp_eq_u32 s1, 1
	s_cselect_b32 s0, -1, 0
	s_cmp_lg_u32 s1, 1
	s_cselect_b32 s9, -1, 0
	s_lshl_b64 s[12:13], s[6:7], 3
	s_add_u32 s2, s2, s12
	s_addc_u32 s3, s3, s13
	s_add_u32 s1, s2, 8
	s_addc_u32 s14, s3, 0
	;; [unrolled: 2-line block ×3, first 2 shown]
	s_cmp_eq_u64 s[10:11], 0
	s_cselect_b32 s13, s14, s13
	s_cselect_b32 s12, s1, s12
	s_load_dwordx2 s[10:11], s[2:3], 0x0
	s_load_dwordx2 s[12:13], s[12:13], 0x0
	s_waitcnt lgkmcnt(0)
	v_cmp_lt_i64_e64 s1, s[10:11], s[12:13]
	s_and_b32 vcc_lo, exec_lo, s1
	s_cbranch_vccnz .LBB32_7
; %bb.6:
	v_mov_b32_e32 v1, 0
	s_mov_b32 s1, 0
	s_branch .LBB32_8
.LBB32_7:
	s_mov_b32 s1, -1
.LBB32_8:
	s_load_dwordx2 s[2:3], s[4:5], 0x58
	v_sub_nc_u16 v14, v0, v6
	v_mov_b32_e32 v7, 0
	v_mov_b32_e32 v6, 0
	s_andn2_b32 vcc_lo, exec_lo, s1
	s_cbranch_vccnz .LBB32_13
; %bb.9:
	v_mul_lo_u16 v1, v8, 52
	v_mov_b32_e32 v6, 0xa3e
	s_clause 0x1
	s_load_dwordx4 s[16:19], s[4:5], 0x38
	s_load_dwordx2 s[14:15], s[4:5], 0x48
	v_and_b32_e32 v9, 0xffff, v14
	s_mul_i32 s5, s8, 0x64
	v_lshrrev_b16 v1, 8, v1
	v_mul_u32_u24_sdwa v10, v0, v6 dst_sel:DWORD dst_unused:UNUSED_PAD src0_sel:WORD_0 src1_sel:DWORD
	v_lshlrev_b32_e32 v6, 2, v0
	s_mul_hi_u32 s1, s8, 0x64
	s_sub_u32 s4, s12, s8
	v_mul_lo_u16 v7, v1, 5
	v_mov_b32_e32 v1, 0
	v_lshrrev_b32_e32 v15, 16, v10
	v_sub_nc_u16 v8, v8, v7
	v_mov_b32_e32 v7, v1
	v_and_b32_e32 v8, 0xff, v8
	v_mad_u64_u32 v[6:7], null, 0x64, s10, v[6:7]
	v_cndmask_b32_e64 v8, v9, v8, s0
	v_add_co_u32 v9, s0, s10, v15
	v_add_co_ci_u32_e64 v11, null, s11, 0, s0
	v_lshlrev_b32_e32 v12, 3, v8
	v_mad_u64_u32 v[7:8], null, 0x64, s11, v[7:8]
	v_sub_co_u32 v10, vcc_lo, v9, s8
	v_subrev_co_ci_u32_e64 v11, null, 0, v11, vcc_lo
	s_waitcnt lgkmcnt(0)
	v_add_co_u32 v8, s0, s14, v12
	v_sub_co_u32 v12, vcc_lo, v6, s5
	v_subrev_co_ci_u32_e64 v13, null, s1, v7, vcc_lo
	v_lshlrev_b64 v[6:7], 3, v[10:11]
	v_add_co_u32 v10, vcc_lo, s18, v12
	v_add_co_ci_u32_e64 v11, null, s19, v13, vcc_lo
	v_add_co_ci_u32_e64 v9, null, s15, 0, s0
	v_add_co_u32 v12, vcc_lo, s16, v6
	v_add_co_ci_u32_e64 v13, null, s17, v7, vcc_lo
	v_mov_b32_e32 v7, v1
	v_mov_b32_e32 v6, v1
	s_subb_u32 s5, s13, 0
	s_sub_u32 s0, s10, s8
	s_subb_u32 s1, s11, 0
	s_inst_prefetch 0x1
	s_branch .LBB32_11
	.p2align	6
.LBB32_10:                              ;   in Loop: Header=BB32_11 Depth=1
	s_or_b32 exec_lo, exec_lo, s10
	s_add_u32 s0, s0, 2
	s_addc_u32 s1, s1, 0
	v_add_co_u32 v10, vcc_lo, 0xc8, v10
	v_cmp_ge_i64_e64 s10, s[0:1], s[4:5]
	v_add_co_ci_u32_e64 v11, null, 0, v11, vcc_lo
	v_add_co_u32 v12, vcc_lo, v12, 16
	v_add_co_ci_u32_e64 v13, null, 0, v13, vcc_lo
	s_and_b32 vcc_lo, exec_lo, s10
	s_cbranch_vccnz .LBB32_13
.LBB32_11:                              ; =>This Inner Loop Header: Depth=1
	v_add_co_u32 v16, s10, v15, s0
	v_add_co_ci_u32_e64 v17, null, 0, s1, s10
	s_mov_b32 s10, exec_lo
	v_cmpx_gt_i64_e64 s[4:5], v[16:17]
	s_cbranch_execz .LBB32_10
; %bb.12:                               ;   in Loop: Header=BB32_11 Depth=1
	global_load_dwordx2 v[16:17], v[12:13], off
	s_waitcnt vmcnt(0)
	v_sub_co_u32 v16, vcc_lo, v16, s8
	v_subrev_co_ci_u32_e64 v18, null, 0, v17, vcc_lo
	v_mad_u64_u32 v[16:17], null, v16, 40, v[8:9]
	v_mad_u64_u32 v[17:18], null, v18, 40, v[17:18]
	global_load_dword v18, v[10:11], off
	global_load_dwordx2 v[16:17], v[16:17], off
	s_waitcnt vmcnt(0)
	v_fmac_f32_e32 v6, v18, v16
	v_fmac_f32_e32 v7, 0, v16
	;; [unrolled: 1-line block ×4, first 2 shown]
	s_branch .LBB32_10
.LBB32_13:
	s_inst_prefetch 0x2
	v_lshlrev_b32_e32 v8, 3, v0
	s_and_b32 vcc_lo, exec_lo, s9
	ds_write_b64 v8, v[6:7]
	s_waitcnt vmcnt(0) lgkmcnt(0)
	buffer_gl0_inv
	s_cbranch_vccz .LBB32_23
; %bb.14:
	s_mov_b32 s0, exec_lo
	v_cmpx_gt_u32_e32 25, v0
	s_cbranch_execz .LBB32_16
; %bb.15:
	ds_read2_b64 v[9:12], v8 offset1:25
	s_waitcnt lgkmcnt(0)
	v_add_f32_e32 v9, v11, v9
	v_add_f32_e32 v10, v12, v10
	ds_write_b64 v8, v[9:10]
.LBB32_16:
	s_or_b32 exec_lo, exec_lo, s0
	s_mov_b32 s0, exec_lo
	s_waitcnt lgkmcnt(0)
	buffer_gl0_inv
	v_cmpx_eq_u16_e32 0, v14
	s_cbranch_execz .LBB32_18
; %bb.17:
	ds_read2_b64 v[9:12], v8 offset1:4
	s_waitcnt lgkmcnt(0)
	v_add_f32_e32 v9, v11, v9
	v_add_f32_e32 v10, v12, v10
	ds_write_b64 v8, v[9:10]
.LBB32_18:
	s_or_b32 exec_lo, exec_lo, s0
	s_mov_b32 s0, exec_lo
	s_waitcnt lgkmcnt(0)
	buffer_gl0_inv
	v_cmpx_gt_u16_e32 2, v14
	s_cbranch_execz .LBB32_20
; %bb.19:
	ds_read2_b64 v[9:12], v8 offset1:2
	s_waitcnt lgkmcnt(0)
	v_add_f32_e32 v9, v11, v9
	v_add_f32_e32 v10, v12, v10
	ds_write_b64 v8, v[9:10]
.LBB32_20:
	s_or_b32 exec_lo, exec_lo, s0
	v_mov_b32_e32 v10, v7
	v_mov_b32_e32 v9, v6
	s_mov_b32 s0, exec_lo
	s_waitcnt lgkmcnt(0)
	buffer_gl0_inv
	v_cmpx_gt_u32_e32 5, v0
	s_cbranch_execz .LBB32_22
; %bb.21:
	v_lshl_add_u32 v9, v0, 5, v8
	ds_read2_b64 v[9:12], v9 offset1:1
	s_waitcnt lgkmcnt(0)
	v_add_f32_e32 v9, v11, v9
	v_add_f32_e32 v10, v12, v10
.LBB32_22:
	s_or_b32 exec_lo, exec_lo, s0
	s_branch .LBB32_33
.LBB32_23:
                                        ; implicit-def: $vgpr10
                                        ; implicit-def: $vgpr9
	s_cbranch_execz .LBB32_33
; %bb.24:
	v_cmp_gt_u32_e32 vcc_lo, 10, v0
	s_and_saveexec_b32 s0, vcc_lo
	s_cbranch_execz .LBB32_26
; %bb.25:
	ds_read2_b64 v[9:12], v8 offset1:40
	s_waitcnt lgkmcnt(0)
	v_add_f32_e32 v9, v11, v9
	v_add_f32_e32 v10, v12, v10
	ds_write_b64 v8, v[9:10]
.LBB32_26:
	s_or_b32 exec_lo, exec_lo, s0
	s_mov_b32 s1, exec_lo
	s_waitcnt lgkmcnt(0)
	buffer_gl0_inv
	v_cmpx_gt_u32_e32 20, v0
	s_cbranch_execz .LBB32_28
; %bb.27:
	ds_read2_b64 v[9:12], v8 offset1:20
	s_waitcnt lgkmcnt(0)
	v_add_f32_e32 v9, v11, v9
	v_add_f32_e32 v10, v12, v10
	ds_write_b64 v8, v[9:10]
.LBB32_28:
	s_or_b32 exec_lo, exec_lo, s1
	s_waitcnt lgkmcnt(0)
	buffer_gl0_inv
	s_and_saveexec_b32 s0, vcc_lo
	s_cbranch_execz .LBB32_30
; %bb.29:
	ds_read2_b64 v[9:12], v8 offset1:10
	s_waitcnt lgkmcnt(0)
	v_add_f32_e32 v9, v11, v9
	v_add_f32_e32 v10, v12, v10
	ds_write_b64 v8, v[9:10]
.LBB32_30:
	s_or_b32 exec_lo, exec_lo, s0
	s_mov_b32 s0, exec_lo
	s_waitcnt lgkmcnt(0)
	buffer_gl0_inv
	v_cmpx_gt_u32_e32 5, v0
	s_cbranch_execz .LBB32_32
; %bb.31:
	ds_read2_b64 v[6:9], v8 offset1:5
	s_waitcnt lgkmcnt(0)
	v_add_f32_e32 v6, v8, v6
	v_add_f32_e32 v7, v9, v7
.LBB32_32:
	s_or_b32 exec_lo, exec_lo, s0
	v_mov_b32_e32 v10, v7
	v_mov_b32_e32 v9, v6
.LBB32_33:
	v_cmp_gt_u32_e32 vcc_lo, 5, v0
	s_and_b32 exec_lo, exec_lo, vcc_lo
	s_cbranch_execz .LBB32_38
; %bb.34:
	v_mul_f32_e64 v6, v10, -v5
	v_mul_f32_e32 v7, v4, v10
	v_cmp_eq_f32_e32 vcc_lo, 0, v2
	v_cmp_eq_f32_e64 s0, 0, v3
	v_lshlrev_b64 v[0:1], 3, v[0:1]
	v_fmac_f32_e32 v6, v4, v9
	v_fmac_f32_e32 v7, v5, v9
	s_mul_hi_u32 s1, s6, 40
	s_and_b32 s5, vcc_lo, s0
	s_mul_i32 s0, s7, 40
	s_mul_i32 s4, s6, 40
	s_and_saveexec_b32 s6, s5
	s_xor_b32 s5, exec_lo, s6
	s_cbranch_execz .LBB32_36
; %bb.35:
	s_add_i32 s6, s1, s0
	s_add_u32 s7, s2, s4
	s_addc_u32 s6, s3, s6
	v_add_co_u32 v0, vcc_lo, s7, v0
	v_add_co_ci_u32_e64 v1, null, s6, v1, vcc_lo
                                        ; implicit-def: $vgpr2_vgpr3
	global_store_dwordx2 v[0:1], v[6:7], off
                                        ; implicit-def: $vgpr0_vgpr1
                                        ; implicit-def: $vgpr6
.LBB32_36:
	s_andn2_saveexec_b32 s5, s5
	s_cbranch_execz .LBB32_38
; %bb.37:
	s_add_i32 s1, s1, s0
	s_add_u32 s0, s2, s4
	s_addc_u32 s1, s3, s1
	v_add_co_u32 v0, vcc_lo, s0, v0
	v_add_co_ci_u32_e64 v1, null, s1, v1, vcc_lo
	global_load_dwordx2 v[4:5], v[0:1], off
	s_waitcnt vmcnt(0)
	v_fmac_f32_e32 v6, v2, v4
	v_fmac_f32_e32 v7, v3, v4
	v_fma_f32 v6, -v3, v5, v6
	v_fmac_f32_e32 v7, v2, v5
	global_store_dwordx2 v[0:1], v[6:7], off
.LBB32_38:
	s_endpgm
	.section	.rodata,"a",@progbits
	.p2align	6, 0x0
	.amdhsa_kernel _ZN9rocsparseL18bsrxmvn_5x5_kernelILj50E21rocsparse_complex_numIfEllfS2_S2_EEvT2_20rocsparse_direction_NS_24const_host_device_scalarIT0_EES3_PKS3_PKT1_SC_S9_PKT3_PKT4_S7_PT5_21rocsparse_index_base_b
		.amdhsa_group_segment_fixed_size 400
		.amdhsa_private_segment_fixed_size 0
		.amdhsa_kernarg_size 104
		.amdhsa_user_sgpr_count 6
		.amdhsa_user_sgpr_private_segment_buffer 1
		.amdhsa_user_sgpr_dispatch_ptr 0
		.amdhsa_user_sgpr_queue_ptr 0
		.amdhsa_user_sgpr_kernarg_segment_ptr 1
		.amdhsa_user_sgpr_dispatch_id 0
		.amdhsa_user_sgpr_flat_scratch_init 0
		.amdhsa_user_sgpr_private_segment_size 0
		.amdhsa_wavefront_size32 1
		.amdhsa_uses_dynamic_stack 0
		.amdhsa_system_sgpr_private_segment_wavefront_offset 0
		.amdhsa_system_sgpr_workgroup_id_x 1
		.amdhsa_system_sgpr_workgroup_id_y 0
		.amdhsa_system_sgpr_workgroup_id_z 0
		.amdhsa_system_sgpr_workgroup_info 0
		.amdhsa_system_vgpr_workitem_id 0
		.amdhsa_next_free_vgpr 19
		.amdhsa_next_free_sgpr 20
		.amdhsa_reserve_vcc 1
		.amdhsa_reserve_flat_scratch 0
		.amdhsa_float_round_mode_32 0
		.amdhsa_float_round_mode_16_64 0
		.amdhsa_float_denorm_mode_32 3
		.amdhsa_float_denorm_mode_16_64 3
		.amdhsa_dx10_clamp 1
		.amdhsa_ieee_mode 1
		.amdhsa_fp16_overflow 0
		.amdhsa_workgroup_processor_mode 1
		.amdhsa_memory_ordered 1
		.amdhsa_forward_progress 1
		.amdhsa_shared_vgpr_count 0
		.amdhsa_exception_fp_ieee_invalid_op 0
		.amdhsa_exception_fp_denorm_src 0
		.amdhsa_exception_fp_ieee_div_zero 0
		.amdhsa_exception_fp_ieee_overflow 0
		.amdhsa_exception_fp_ieee_underflow 0
		.amdhsa_exception_fp_ieee_inexact 0
		.amdhsa_exception_int_div_zero 0
	.end_amdhsa_kernel
	.section	.text._ZN9rocsparseL18bsrxmvn_5x5_kernelILj50E21rocsparse_complex_numIfEllfS2_S2_EEvT2_20rocsparse_direction_NS_24const_host_device_scalarIT0_EES3_PKS3_PKT1_SC_S9_PKT3_PKT4_S7_PT5_21rocsparse_index_base_b,"axG",@progbits,_ZN9rocsparseL18bsrxmvn_5x5_kernelILj50E21rocsparse_complex_numIfEllfS2_S2_EEvT2_20rocsparse_direction_NS_24const_host_device_scalarIT0_EES3_PKS3_PKT1_SC_S9_PKT3_PKT4_S7_PT5_21rocsparse_index_base_b,comdat
.Lfunc_end32:
	.size	_ZN9rocsparseL18bsrxmvn_5x5_kernelILj50E21rocsparse_complex_numIfEllfS2_S2_EEvT2_20rocsparse_direction_NS_24const_host_device_scalarIT0_EES3_PKS3_PKT1_SC_S9_PKT3_PKT4_S7_PT5_21rocsparse_index_base_b, .Lfunc_end32-_ZN9rocsparseL18bsrxmvn_5x5_kernelILj50E21rocsparse_complex_numIfEllfS2_S2_EEvT2_20rocsparse_direction_NS_24const_host_device_scalarIT0_EES3_PKS3_PKT1_SC_S9_PKT3_PKT4_S7_PT5_21rocsparse_index_base_b
                                        ; -- End function
	.set _ZN9rocsparseL18bsrxmvn_5x5_kernelILj50E21rocsparse_complex_numIfEllfS2_S2_EEvT2_20rocsparse_direction_NS_24const_host_device_scalarIT0_EES3_PKS3_PKT1_SC_S9_PKT3_PKT4_S7_PT5_21rocsparse_index_base_b.num_vgpr, 19
	.set _ZN9rocsparseL18bsrxmvn_5x5_kernelILj50E21rocsparse_complex_numIfEllfS2_S2_EEvT2_20rocsparse_direction_NS_24const_host_device_scalarIT0_EES3_PKS3_PKT1_SC_S9_PKT3_PKT4_S7_PT5_21rocsparse_index_base_b.num_agpr, 0
	.set _ZN9rocsparseL18bsrxmvn_5x5_kernelILj50E21rocsparse_complex_numIfEllfS2_S2_EEvT2_20rocsparse_direction_NS_24const_host_device_scalarIT0_EES3_PKS3_PKT1_SC_S9_PKT3_PKT4_S7_PT5_21rocsparse_index_base_b.numbered_sgpr, 20
	.set _ZN9rocsparseL18bsrxmvn_5x5_kernelILj50E21rocsparse_complex_numIfEllfS2_S2_EEvT2_20rocsparse_direction_NS_24const_host_device_scalarIT0_EES3_PKS3_PKT1_SC_S9_PKT3_PKT4_S7_PT5_21rocsparse_index_base_b.num_named_barrier, 0
	.set _ZN9rocsparseL18bsrxmvn_5x5_kernelILj50E21rocsparse_complex_numIfEllfS2_S2_EEvT2_20rocsparse_direction_NS_24const_host_device_scalarIT0_EES3_PKS3_PKT1_SC_S9_PKT3_PKT4_S7_PT5_21rocsparse_index_base_b.private_seg_size, 0
	.set _ZN9rocsparseL18bsrxmvn_5x5_kernelILj50E21rocsparse_complex_numIfEllfS2_S2_EEvT2_20rocsparse_direction_NS_24const_host_device_scalarIT0_EES3_PKS3_PKT1_SC_S9_PKT3_PKT4_S7_PT5_21rocsparse_index_base_b.uses_vcc, 1
	.set _ZN9rocsparseL18bsrxmvn_5x5_kernelILj50E21rocsparse_complex_numIfEllfS2_S2_EEvT2_20rocsparse_direction_NS_24const_host_device_scalarIT0_EES3_PKS3_PKT1_SC_S9_PKT3_PKT4_S7_PT5_21rocsparse_index_base_b.uses_flat_scratch, 0
	.set _ZN9rocsparseL18bsrxmvn_5x5_kernelILj50E21rocsparse_complex_numIfEllfS2_S2_EEvT2_20rocsparse_direction_NS_24const_host_device_scalarIT0_EES3_PKS3_PKT1_SC_S9_PKT3_PKT4_S7_PT5_21rocsparse_index_base_b.has_dyn_sized_stack, 0
	.set _ZN9rocsparseL18bsrxmvn_5x5_kernelILj50E21rocsparse_complex_numIfEllfS2_S2_EEvT2_20rocsparse_direction_NS_24const_host_device_scalarIT0_EES3_PKS3_PKT1_SC_S9_PKT3_PKT4_S7_PT5_21rocsparse_index_base_b.has_recursion, 0
	.set _ZN9rocsparseL18bsrxmvn_5x5_kernelILj50E21rocsparse_complex_numIfEllfS2_S2_EEvT2_20rocsparse_direction_NS_24const_host_device_scalarIT0_EES3_PKS3_PKT1_SC_S9_PKT3_PKT4_S7_PT5_21rocsparse_index_base_b.has_indirect_call, 0
	.section	.AMDGPU.csdata,"",@progbits
; Kernel info:
; codeLenInByte = 1556
; TotalNumSgprs: 22
; NumVgprs: 19
; ScratchSize: 0
; MemoryBound: 0
; FloatMode: 240
; IeeeMode: 1
; LDSByteSize: 400 bytes/workgroup (compile time only)
; SGPRBlocks: 0
; VGPRBlocks: 2
; NumSGPRsForWavesPerEU: 22
; NumVGPRsForWavesPerEU: 19
; Occupancy: 16
; WaveLimiterHint : 1
; COMPUTE_PGM_RSRC2:SCRATCH_EN: 0
; COMPUTE_PGM_RSRC2:USER_SGPR: 6
; COMPUTE_PGM_RSRC2:TRAP_HANDLER: 0
; COMPUTE_PGM_RSRC2:TGID_X_EN: 1
; COMPUTE_PGM_RSRC2:TGID_Y_EN: 0
; COMPUTE_PGM_RSRC2:TGID_Z_EN: 0
; COMPUTE_PGM_RSRC2:TIDIG_COMP_CNT: 0
	.section	.text._ZN9rocsparseL18bsrxmvn_5x5_kernelILj50E21rocsparse_complex_numIdEiidS2_S2_EEvT2_20rocsparse_direction_NS_24const_host_device_scalarIT0_EES3_PKS3_PKT1_SC_S9_PKT3_PKT4_S7_PT5_21rocsparse_index_base_b,"axG",@progbits,_ZN9rocsparseL18bsrxmvn_5x5_kernelILj50E21rocsparse_complex_numIdEiidS2_S2_EEvT2_20rocsparse_direction_NS_24const_host_device_scalarIT0_EES3_PKS3_PKT1_SC_S9_PKT3_PKT4_S7_PT5_21rocsparse_index_base_b,comdat
	.globl	_ZN9rocsparseL18bsrxmvn_5x5_kernelILj50E21rocsparse_complex_numIdEiidS2_S2_EEvT2_20rocsparse_direction_NS_24const_host_device_scalarIT0_EES3_PKS3_PKT1_SC_S9_PKT3_PKT4_S7_PT5_21rocsparse_index_base_b ; -- Begin function _ZN9rocsparseL18bsrxmvn_5x5_kernelILj50E21rocsparse_complex_numIdEiidS2_S2_EEvT2_20rocsparse_direction_NS_24const_host_device_scalarIT0_EES3_PKS3_PKT1_SC_S9_PKT3_PKT4_S7_PT5_21rocsparse_index_base_b
	.p2align	8
	.type	_ZN9rocsparseL18bsrxmvn_5x5_kernelILj50E21rocsparse_complex_numIdEiidS2_S2_EEvT2_20rocsparse_direction_NS_24const_host_device_scalarIT0_EES3_PKS3_PKT1_SC_S9_PKT3_PKT4_S7_PT5_21rocsparse_index_base_b,@function
_ZN9rocsparseL18bsrxmvn_5x5_kernelILj50E21rocsparse_complex_numIdEiidS2_S2_EEvT2_20rocsparse_direction_NS_24const_host_device_scalarIT0_EES3_PKS3_PKT1_SC_S9_PKT3_PKT4_S7_PT5_21rocsparse_index_base_b: ; @_ZN9rocsparseL18bsrxmvn_5x5_kernelILj50E21rocsparse_complex_numIdEiidS2_S2_EEvT2_20rocsparse_direction_NS_24const_host_device_scalarIT0_EES3_PKS3_PKT1_SC_S9_PKT3_PKT4_S7_PT5_21rocsparse_index_base_b
; %bb.0:
	s_clause 0x1
	s_load_dwordx2 s[10:11], s[4:5], 0x68
	s_load_dwordx2 s[0:1], s[4:5], 0x8
	s_add_u32 s7, s4, 8
	s_addc_u32 s8, s5, 0
	s_add_u32 s9, s4, 0x50
	s_addc_u32 s12, s5, 0
	s_load_dwordx2 s[2:3], s[4:5], 0x50
	s_waitcnt lgkmcnt(0)
	s_bitcmp1_b32 s11, 0
	s_cselect_b32 s0, s7, s0
	s_cselect_b32 s1, s8, s1
	v_mov_b32_e32 v1, s0
	v_mov_b32_e32 v2, s1
	s_cselect_b32 s0, s9, s2
	s_cselect_b32 s1, s12, s3
	flat_load_dwordx4 v[5:8], v[1:2]
	v_mov_b32_e32 v1, s0
	v_mov_b32_e32 v2, s1
	flat_load_dwordx4 v[1:4], v[1:2]
	s_waitcnt vmcnt(1) lgkmcnt(1)
	v_cmp_eq_f64_e32 vcc_lo, 0, v[5:6]
	v_cmp_eq_f64_e64 s0, 0, v[7:8]
	s_and_b32 s2, vcc_lo, s0
	s_mov_b32 s0, -1
	s_and_saveexec_b32 s1, s2
	s_cbranch_execz .LBB33_2
; %bb.1:
	s_waitcnt vmcnt(0) lgkmcnt(0)
	v_cmp_neq_f64_e32 vcc_lo, 1.0, v[1:2]
	v_cmp_neq_f64_e64 s0, 0, v[3:4]
	s_or_b32 s0, vcc_lo, s0
	s_orn2_b32 s0, s0, exec_lo
.LBB33_2:
	s_or_b32 exec_lo, exec_lo, s1
	s_and_saveexec_b32 s1, s0
	s_cbranch_execz .LBB33_35
; %bb.3:
	s_clause 0x1
	s_load_dwordx4 s[0:3], s[4:5], 0x20
	s_load_dwordx2 s[8:9], s[4:5], 0x30
	s_waitcnt lgkmcnt(0)
	s_cmp_eq_u64 s[0:1], 0
	s_cbranch_scc1 .LBB33_5
; %bb.4:
	s_ashr_i32 s7, s6, 31
	s_lshl_b64 s[6:7], s[6:7], 2
	s_add_u32 s0, s0, s6
	s_addc_u32 s1, s1, s7
	s_load_dword s0, s[0:1], 0x0
	s_waitcnt lgkmcnt(0)
	s_sub_i32 s6, s0, s10
.LBB33_5:
	s_load_dword s0, s[4:5], 0x4
	v_mul_u32_u24_e32 v9, 0x3334, v0
	v_mov_b32_e32 v11, 0
	v_mov_b32_e32 v12, 0
	v_lshrrev_b32_e32 v13, 16, v9
	v_mov_b32_e32 v9, 0
	v_mov_b32_e32 v10, 0
	v_mul_lo_u16 v14, v13, 5
	v_sub_nc_u16 v18, v0, v14
	s_waitcnt lgkmcnt(0)
	s_cmp_eq_u32 s0, 1
	s_cselect_b32 vcc_lo, -1, 0
	s_cmp_lg_u32 s0, 1
	s_cselect_b32 s11, -1, 0
	s_ashr_i32 s7, s6, 31
	s_lshl_b64 s[0:1], s[6:7], 2
	s_add_u32 s2, s2, s0
	s_addc_u32 s3, s3, s1
	s_add_u32 s7, s2, 4
	s_addc_u32 s12, s3, 0
	;; [unrolled: 2-line block ×3, first 2 shown]
	s_cmp_eq_u64 s[8:9], 0
	s_cselect_b32 s1, s12, s1
	s_cselect_b32 s0, s7, s0
	s_load_dword s7, s[2:3], 0x0
	s_load_dword s14, s[0:1], 0x0
	s_load_dwordx2 s[8:9], s[4:5], 0x60
	s_waitcnt lgkmcnt(0)
	s_cmp_ge_i32 s7, s14
	s_cbranch_scc1 .LBB33_10
; %bb.6:
	v_mul_lo_u16 v9, v13, 52
	s_clause 0x1
	s_load_dwordx2 s[12:13], s[4:5], 0x48
	s_load_dwordx4 s[0:3], s[4:5], 0x38
	v_mov_b32_e32 v15, 0xa3e
	v_mov_b32_e32 v11, 0
	;; [unrolled: 1-line block ×3, first 2 shown]
	v_lshrrev_b16 v9, 8, v9
	s_mul_i32 s4, s10, 25
	v_mul_u32_u24_sdwa v19, v0, v15 dst_sel:DWORD dst_unused:UNUSED_PAD src0_sel:WORD_0 src1_sel:DWORD
	v_mov_b32_e32 v14, 0
	s_sub_i32 s5, s7, s10
	v_mul_lo_u16 v9, v9, 5
	v_sub_nc_u16 v13, v13, v9
	s_waitcnt vmcnt(0)
	v_mad_u64_u32 v[9:10], null, s7, 25, v[0:1]
	v_and_b32_e32 v10, 0xffff, v18
	v_and_b32_e32 v16, 0xff, v13
	v_subrev_nc_u32_e32 v13, s4, v9
	v_cndmask_b32_e32 v15, v10, v16, vcc_lo
	v_mov_b32_e32 v9, v11
	v_mov_b32_e32 v10, v12
	s_sub_i32 s4, s14, s10
	s_branch .LBB33_8
.LBB33_7:                               ;   in Loop: Header=BB33_8 Depth=1
	s_or_b32 exec_lo, exec_lo, s7
	v_add_nc_u32_e32 v13, 50, v13
	s_add_i32 s5, s5, 2
	s_cmp_ge_i32 s5, s4
	s_cbranch_scc1 .LBB33_10
.LBB33_8:                               ; =>This Inner Loop Header: Depth=1
	v_add_nc_u32_sdwa v16, v19, s5 dst_sel:DWORD dst_unused:UNUSED_PAD src0_sel:WORD_1 src1_sel:DWORD
	s_mov_b32 s7, exec_lo
	v_cmpx_gt_i32_e64 s4, v16
	s_cbranch_execz .LBB33_7
; %bb.9:                                ;   in Loop: Header=BB33_8 Depth=1
	v_ashrrev_i32_e32 v17, 31, v16
	v_lshlrev_b64 v[20:21], 3, v[13:14]
	v_lshlrev_b64 v[16:17], 2, v[16:17]
	s_waitcnt lgkmcnt(0)
	v_add_co_u32 v16, vcc_lo, s0, v16
	v_add_co_ci_u32_e64 v17, null, s1, v17, vcc_lo
	v_add_co_u32 v20, vcc_lo, s2, v20
	v_add_co_ci_u32_e64 v21, null, s3, v21, vcc_lo
	global_load_dword v16, v[16:17], off
	s_waitcnt vmcnt(0)
	v_subrev_nc_u32_e32 v16, s10, v16
	v_mad_u64_u32 v[16:17], null, v16, 5, v[15:16]
	v_ashrrev_i32_e32 v17, 31, v16
	v_lshlrev_b64 v[16:17], 4, v[16:17]
	v_add_co_u32 v16, vcc_lo, s12, v16
	v_add_co_ci_u32_e64 v17, null, s13, v17, vcc_lo
	global_load_dwordx2 v[24:25], v[20:21], off
	global_load_dwordx4 v[20:23], v[16:17], off
	s_waitcnt vmcnt(0)
	v_fma_f64 v[9:10], v[24:25], v[20:21], v[9:10]
	v_fma_f64 v[11:12], v[20:21], 0, v[11:12]
	;; [unrolled: 1-line block ×4, first 2 shown]
	s_branch .LBB33_7
.LBB33_10:
	v_lshlrev_b32_e32 v17, 4, v0
	s_and_b32 vcc_lo, exec_lo, s11
	ds_write_b128 v17, v[9:12]
	s_waitcnt vmcnt(0) lgkmcnt(0)
	buffer_gl0_inv
	s_cbranch_vccz .LBB33_20
; %bb.11:
	s_mov_b32 s0, exec_lo
	v_cmpx_gt_u32_e32 25, v0
	s_cbranch_execz .LBB33_13
; %bb.12:
	ds_read_b128 v[13:16], v17 offset:400
	ds_read_b128 v[19:22], v17
	s_waitcnt lgkmcnt(0)
	v_add_f64 v[13:14], v[13:14], v[19:20]
	v_add_f64 v[15:16], v[15:16], v[21:22]
	ds_write_b128 v17, v[13:16]
.LBB33_13:
	s_or_b32 exec_lo, exec_lo, s0
	s_mov_b32 s0, exec_lo
	s_waitcnt lgkmcnt(0)
	buffer_gl0_inv
	v_cmpx_eq_u16_e32 0, v18
	s_cbranch_execz .LBB33_15
; %bb.14:
	ds_read_b128 v[13:16], v17 offset:64
	ds_read_b128 v[19:22], v17
	s_waitcnt lgkmcnt(0)
	v_add_f64 v[13:14], v[13:14], v[19:20]
	v_add_f64 v[15:16], v[15:16], v[21:22]
	ds_write_b128 v17, v[13:16]
.LBB33_15:
	s_or_b32 exec_lo, exec_lo, s0
	s_mov_b32 s0, exec_lo
	s_waitcnt lgkmcnt(0)
	buffer_gl0_inv
	v_cmpx_gt_u16_e32 2, v18
	s_cbranch_execz .LBB33_17
; %bb.16:
	ds_read_b128 v[13:16], v17
	ds_read_b128 v[18:21], v17 offset:32
	s_waitcnt lgkmcnt(0)
	v_add_f64 v[13:14], v[18:19], v[13:14]
	v_add_f64 v[15:16], v[20:21], v[15:16]
	ds_write_b128 v17, v[13:16]
.LBB33_17:
	s_or_b32 exec_lo, exec_lo, s0
	v_mov_b32_e32 v16, v12
	v_mov_b32_e32 v14, v10
	;; [unrolled: 1-line block ×4, first 2 shown]
	s_mov_b32 s0, exec_lo
	s_waitcnt lgkmcnt(0)
	buffer_gl0_inv
	v_cmpx_gt_u32_e32 5, v0
	s_cbranch_execz .LBB33_19
; %bb.18:
	v_lshl_add_u32 v18, v0, 6, v17
	ds_read_b128 v[13:16], v18
	ds_read_b128 v[18:21], v18 offset:16
	s_waitcnt lgkmcnt(0)
	v_add_f64 v[13:14], v[18:19], v[13:14]
	v_add_f64 v[15:16], v[20:21], v[15:16]
.LBB33_19:
	s_or_b32 exec_lo, exec_lo, s0
	s_branch .LBB33_30
.LBB33_20:
                                        ; implicit-def: $vgpr15_vgpr16
                                        ; implicit-def: $vgpr13_vgpr14
	s_cbranch_execz .LBB33_30
; %bb.21:
	v_cmp_gt_u32_e32 vcc_lo, 10, v0
	s_and_saveexec_b32 s0, vcc_lo
	s_cbranch_execz .LBB33_23
; %bb.22:
	ds_read_b128 v[13:16], v17 offset:640
	ds_read_b128 v[18:21], v17
	s_waitcnt lgkmcnt(0)
	v_add_f64 v[13:14], v[13:14], v[18:19]
	v_add_f64 v[15:16], v[15:16], v[20:21]
	ds_write_b128 v17, v[13:16]
.LBB33_23:
	s_or_b32 exec_lo, exec_lo, s0
	s_mov_b32 s1, exec_lo
	s_waitcnt lgkmcnt(0)
	buffer_gl0_inv
	v_cmpx_gt_u32_e32 20, v0
	s_cbranch_execz .LBB33_25
; %bb.24:
	ds_read_b128 v[13:16], v17 offset:320
	ds_read_b128 v[18:21], v17
	s_waitcnt lgkmcnt(0)
	v_add_f64 v[13:14], v[13:14], v[18:19]
	v_add_f64 v[15:16], v[15:16], v[20:21]
	ds_write_b128 v17, v[13:16]
.LBB33_25:
	s_or_b32 exec_lo, exec_lo, s1
	s_waitcnt lgkmcnt(0)
	buffer_gl0_inv
	s_and_saveexec_b32 s0, vcc_lo
	s_cbranch_execz .LBB33_27
; %bb.26:
	ds_read_b128 v[13:16], v17 offset:160
	ds_read_b128 v[18:21], v17
	s_waitcnt lgkmcnt(0)
	v_add_f64 v[13:14], v[13:14], v[18:19]
	v_add_f64 v[15:16], v[15:16], v[20:21]
	ds_write_b128 v17, v[13:16]
.LBB33_27:
	s_or_b32 exec_lo, exec_lo, s0
	s_mov_b32 s0, exec_lo
	s_waitcnt lgkmcnt(0)
	buffer_gl0_inv
	v_cmpx_gt_u32_e32 5, v0
	s_cbranch_execz .LBB33_29
; %bb.28:
	ds_read_b128 v[9:12], v17 offset:80
	ds_read_b128 v[13:16], v17
	s_waitcnt lgkmcnt(0)
	v_add_f64 v[9:10], v[9:10], v[13:14]
	v_add_f64 v[11:12], v[11:12], v[15:16]
.LBB33_29:
	s_or_b32 exec_lo, exec_lo, s0
	v_mov_b32_e32 v16, v12
	v_mov_b32_e32 v14, v10
	;; [unrolled: 1-line block ×4, first 2 shown]
.LBB33_30:
	v_cmp_gt_u32_e32 vcc_lo, 5, v0
	s_and_b32 exec_lo, exec_lo, vcc_lo
	s_cbranch_execz .LBB33_35
; %bb.31:
	v_mul_f64 v[9:10], v[15:16], -v[7:8]
	v_mul_f64 v[11:12], v[5:6], v[15:16]
	v_cmp_eq_f64_e32 vcc_lo, 0, v[1:2]
	v_cmp_eq_f64_e64 s0, 0, v[3:4]
	v_fma_f64 v[5:6], v[5:6], v[13:14], v[9:10]
	v_fma_f64 v[7:8], v[7:8], v[13:14], v[11:12]
	s_and_b32 s0, vcc_lo, s0
	s_and_saveexec_b32 s1, s0
	s_xor_b32 s0, exec_lo, s1
	s_cbranch_execz .LBB33_33
; %bb.32:
	v_mad_u64_u32 v[0:1], null, s6, 5, v[0:1]
	v_mov_b32_e32 v1, 0
	v_lshlrev_b64 v[0:1], 4, v[0:1]
	v_add_co_u32 v0, vcc_lo, s8, v0
	v_add_co_ci_u32_e64 v1, null, s9, v1, vcc_lo
	global_store_dwordx4 v[0:1], v[5:8], off
                                        ; implicit-def: $vgpr0
                                        ; implicit-def: $vgpr1_vgpr2
                                        ; implicit-def: $vgpr5_vgpr6
.LBB33_33:
	s_andn2_saveexec_b32 s0, s0
	s_cbranch_execz .LBB33_35
; %bb.34:
	v_mad_u64_u32 v[9:10], null, s6, 5, v[0:1]
	v_mov_b32_e32 v10, 0
	v_lshlrev_b64 v[9:10], 4, v[9:10]
	v_add_co_u32 v13, vcc_lo, s8, v9
	v_add_co_ci_u32_e64 v14, null, s9, v10, vcc_lo
	global_load_dwordx4 v[9:12], v[13:14], off
	s_waitcnt vmcnt(0)
	v_fma_f64 v[5:6], v[1:2], v[9:10], v[5:6]
	v_fma_f64 v[7:8], v[3:4], v[9:10], v[7:8]
	v_fma_f64 v[3:4], -v[3:4], v[11:12], v[5:6]
	v_fma_f64 v[5:6], v[1:2], v[11:12], v[7:8]
	global_store_dwordx4 v[13:14], v[3:6], off
.LBB33_35:
	s_endpgm
	.section	.rodata,"a",@progbits
	.p2align	6, 0x0
	.amdhsa_kernel _ZN9rocsparseL18bsrxmvn_5x5_kernelILj50E21rocsparse_complex_numIdEiidS2_S2_EEvT2_20rocsparse_direction_NS_24const_host_device_scalarIT0_EES3_PKS3_PKT1_SC_S9_PKT3_PKT4_S7_PT5_21rocsparse_index_base_b
		.amdhsa_group_segment_fixed_size 800
		.amdhsa_private_segment_fixed_size 0
		.amdhsa_kernarg_size 112
		.amdhsa_user_sgpr_count 6
		.amdhsa_user_sgpr_private_segment_buffer 1
		.amdhsa_user_sgpr_dispatch_ptr 0
		.amdhsa_user_sgpr_queue_ptr 0
		.amdhsa_user_sgpr_kernarg_segment_ptr 1
		.amdhsa_user_sgpr_dispatch_id 0
		.amdhsa_user_sgpr_flat_scratch_init 0
		.amdhsa_user_sgpr_private_segment_size 0
		.amdhsa_wavefront_size32 1
		.amdhsa_uses_dynamic_stack 0
		.amdhsa_system_sgpr_private_segment_wavefront_offset 0
		.amdhsa_system_sgpr_workgroup_id_x 1
		.amdhsa_system_sgpr_workgroup_id_y 0
		.amdhsa_system_sgpr_workgroup_id_z 0
		.amdhsa_system_sgpr_workgroup_info 0
		.amdhsa_system_vgpr_workitem_id 0
		.amdhsa_next_free_vgpr 26
		.amdhsa_next_free_sgpr 15
		.amdhsa_reserve_vcc 1
		.amdhsa_reserve_flat_scratch 0
		.amdhsa_float_round_mode_32 0
		.amdhsa_float_round_mode_16_64 0
		.amdhsa_float_denorm_mode_32 3
		.amdhsa_float_denorm_mode_16_64 3
		.amdhsa_dx10_clamp 1
		.amdhsa_ieee_mode 1
		.amdhsa_fp16_overflow 0
		.amdhsa_workgroup_processor_mode 1
		.amdhsa_memory_ordered 1
		.amdhsa_forward_progress 1
		.amdhsa_shared_vgpr_count 0
		.amdhsa_exception_fp_ieee_invalid_op 0
		.amdhsa_exception_fp_denorm_src 0
		.amdhsa_exception_fp_ieee_div_zero 0
		.amdhsa_exception_fp_ieee_overflow 0
		.amdhsa_exception_fp_ieee_underflow 0
		.amdhsa_exception_fp_ieee_inexact 0
		.amdhsa_exception_int_div_zero 0
	.end_amdhsa_kernel
	.section	.text._ZN9rocsparseL18bsrxmvn_5x5_kernelILj50E21rocsparse_complex_numIdEiidS2_S2_EEvT2_20rocsparse_direction_NS_24const_host_device_scalarIT0_EES3_PKS3_PKT1_SC_S9_PKT3_PKT4_S7_PT5_21rocsparse_index_base_b,"axG",@progbits,_ZN9rocsparseL18bsrxmvn_5x5_kernelILj50E21rocsparse_complex_numIdEiidS2_S2_EEvT2_20rocsparse_direction_NS_24const_host_device_scalarIT0_EES3_PKS3_PKT1_SC_S9_PKT3_PKT4_S7_PT5_21rocsparse_index_base_b,comdat
.Lfunc_end33:
	.size	_ZN9rocsparseL18bsrxmvn_5x5_kernelILj50E21rocsparse_complex_numIdEiidS2_S2_EEvT2_20rocsparse_direction_NS_24const_host_device_scalarIT0_EES3_PKS3_PKT1_SC_S9_PKT3_PKT4_S7_PT5_21rocsparse_index_base_b, .Lfunc_end33-_ZN9rocsparseL18bsrxmvn_5x5_kernelILj50E21rocsparse_complex_numIdEiidS2_S2_EEvT2_20rocsparse_direction_NS_24const_host_device_scalarIT0_EES3_PKS3_PKT1_SC_S9_PKT3_PKT4_S7_PT5_21rocsparse_index_base_b
                                        ; -- End function
	.set _ZN9rocsparseL18bsrxmvn_5x5_kernelILj50E21rocsparse_complex_numIdEiidS2_S2_EEvT2_20rocsparse_direction_NS_24const_host_device_scalarIT0_EES3_PKS3_PKT1_SC_S9_PKT3_PKT4_S7_PT5_21rocsparse_index_base_b.num_vgpr, 26
	.set _ZN9rocsparseL18bsrxmvn_5x5_kernelILj50E21rocsparse_complex_numIdEiidS2_S2_EEvT2_20rocsparse_direction_NS_24const_host_device_scalarIT0_EES3_PKS3_PKT1_SC_S9_PKT3_PKT4_S7_PT5_21rocsparse_index_base_b.num_agpr, 0
	.set _ZN9rocsparseL18bsrxmvn_5x5_kernelILj50E21rocsparse_complex_numIdEiidS2_S2_EEvT2_20rocsparse_direction_NS_24const_host_device_scalarIT0_EES3_PKS3_PKT1_SC_S9_PKT3_PKT4_S7_PT5_21rocsparse_index_base_b.numbered_sgpr, 15
	.set _ZN9rocsparseL18bsrxmvn_5x5_kernelILj50E21rocsparse_complex_numIdEiidS2_S2_EEvT2_20rocsparse_direction_NS_24const_host_device_scalarIT0_EES3_PKS3_PKT1_SC_S9_PKT3_PKT4_S7_PT5_21rocsparse_index_base_b.num_named_barrier, 0
	.set _ZN9rocsparseL18bsrxmvn_5x5_kernelILj50E21rocsparse_complex_numIdEiidS2_S2_EEvT2_20rocsparse_direction_NS_24const_host_device_scalarIT0_EES3_PKS3_PKT1_SC_S9_PKT3_PKT4_S7_PT5_21rocsparse_index_base_b.private_seg_size, 0
	.set _ZN9rocsparseL18bsrxmvn_5x5_kernelILj50E21rocsparse_complex_numIdEiidS2_S2_EEvT2_20rocsparse_direction_NS_24const_host_device_scalarIT0_EES3_PKS3_PKT1_SC_S9_PKT3_PKT4_S7_PT5_21rocsparse_index_base_b.uses_vcc, 1
	.set _ZN9rocsparseL18bsrxmvn_5x5_kernelILj50E21rocsparse_complex_numIdEiidS2_S2_EEvT2_20rocsparse_direction_NS_24const_host_device_scalarIT0_EES3_PKS3_PKT1_SC_S9_PKT3_PKT4_S7_PT5_21rocsparse_index_base_b.uses_flat_scratch, 0
	.set _ZN9rocsparseL18bsrxmvn_5x5_kernelILj50E21rocsparse_complex_numIdEiidS2_S2_EEvT2_20rocsparse_direction_NS_24const_host_device_scalarIT0_EES3_PKS3_PKT1_SC_S9_PKT3_PKT4_S7_PT5_21rocsparse_index_base_b.has_dyn_sized_stack, 0
	.set _ZN9rocsparseL18bsrxmvn_5x5_kernelILj50E21rocsparse_complex_numIdEiidS2_S2_EEvT2_20rocsparse_direction_NS_24const_host_device_scalarIT0_EES3_PKS3_PKT1_SC_S9_PKT3_PKT4_S7_PT5_21rocsparse_index_base_b.has_recursion, 0
	.set _ZN9rocsparseL18bsrxmvn_5x5_kernelILj50E21rocsparse_complex_numIdEiidS2_S2_EEvT2_20rocsparse_direction_NS_24const_host_device_scalarIT0_EES3_PKS3_PKT1_SC_S9_PKT3_PKT4_S7_PT5_21rocsparse_index_base_b.has_indirect_call, 0
	.section	.AMDGPU.csdata,"",@progbits
; Kernel info:
; codeLenInByte = 1568
; TotalNumSgprs: 17
; NumVgprs: 26
; ScratchSize: 0
; MemoryBound: 0
; FloatMode: 240
; IeeeMode: 1
; LDSByteSize: 800 bytes/workgroup (compile time only)
; SGPRBlocks: 0
; VGPRBlocks: 3
; NumSGPRsForWavesPerEU: 17
; NumVGPRsForWavesPerEU: 26
; Occupancy: 16
; WaveLimiterHint : 1
; COMPUTE_PGM_RSRC2:SCRATCH_EN: 0
; COMPUTE_PGM_RSRC2:USER_SGPR: 6
; COMPUTE_PGM_RSRC2:TRAP_HANDLER: 0
; COMPUTE_PGM_RSRC2:TGID_X_EN: 1
; COMPUTE_PGM_RSRC2:TGID_Y_EN: 0
; COMPUTE_PGM_RSRC2:TGID_Z_EN: 0
; COMPUTE_PGM_RSRC2:TIDIG_COMP_CNT: 0
	.section	.text._ZN9rocsparseL18bsrxmvn_5x5_kernelILj50E21rocsparse_complex_numIdElidS2_S2_EEvT2_20rocsparse_direction_NS_24const_host_device_scalarIT0_EES3_PKS3_PKT1_SC_S9_PKT3_PKT4_S7_PT5_21rocsparse_index_base_b,"axG",@progbits,_ZN9rocsparseL18bsrxmvn_5x5_kernelILj50E21rocsparse_complex_numIdElidS2_S2_EEvT2_20rocsparse_direction_NS_24const_host_device_scalarIT0_EES3_PKS3_PKT1_SC_S9_PKT3_PKT4_S7_PT5_21rocsparse_index_base_b,comdat
	.globl	_ZN9rocsparseL18bsrxmvn_5x5_kernelILj50E21rocsparse_complex_numIdElidS2_S2_EEvT2_20rocsparse_direction_NS_24const_host_device_scalarIT0_EES3_PKS3_PKT1_SC_S9_PKT3_PKT4_S7_PT5_21rocsparse_index_base_b ; -- Begin function _ZN9rocsparseL18bsrxmvn_5x5_kernelILj50E21rocsparse_complex_numIdElidS2_S2_EEvT2_20rocsparse_direction_NS_24const_host_device_scalarIT0_EES3_PKS3_PKT1_SC_S9_PKT3_PKT4_S7_PT5_21rocsparse_index_base_b
	.p2align	8
	.type	_ZN9rocsparseL18bsrxmvn_5x5_kernelILj50E21rocsparse_complex_numIdElidS2_S2_EEvT2_20rocsparse_direction_NS_24const_host_device_scalarIT0_EES3_PKS3_PKT1_SC_S9_PKT3_PKT4_S7_PT5_21rocsparse_index_base_b,@function
_ZN9rocsparseL18bsrxmvn_5x5_kernelILj50E21rocsparse_complex_numIdElidS2_S2_EEvT2_20rocsparse_direction_NS_24const_host_device_scalarIT0_EES3_PKS3_PKT1_SC_S9_PKT3_PKT4_S7_PT5_21rocsparse_index_base_b: ; @_ZN9rocsparseL18bsrxmvn_5x5_kernelILj50E21rocsparse_complex_numIdElidS2_S2_EEvT2_20rocsparse_direction_NS_24const_host_device_scalarIT0_EES3_PKS3_PKT1_SC_S9_PKT3_PKT4_S7_PT5_21rocsparse_index_base_b
; %bb.0:
	s_clause 0x1
	s_load_dwordx2 s[8:9], s[4:5], 0x68
	s_load_dwordx2 s[0:1], s[4:5], 0x8
	s_add_u32 s7, s4, 8
	s_addc_u32 s10, s5, 0
	s_add_u32 s11, s4, 0x50
	s_addc_u32 s12, s5, 0
	s_load_dwordx2 s[2:3], s[4:5], 0x50
	s_waitcnt lgkmcnt(0)
	s_bitcmp1_b32 s9, 0
	s_cselect_b32 s0, s7, s0
	s_cselect_b32 s1, s10, s1
	v_mov_b32_e32 v1, s0
	v_mov_b32_e32 v2, s1
	s_cselect_b32 s0, s11, s2
	s_cselect_b32 s1, s12, s3
	flat_load_dwordx4 v[5:8], v[1:2]
	v_mov_b32_e32 v1, s0
	v_mov_b32_e32 v2, s1
	flat_load_dwordx4 v[1:4], v[1:2]
	s_waitcnt vmcnt(1) lgkmcnt(1)
	v_cmp_eq_f64_e32 vcc_lo, 0, v[5:6]
	v_cmp_eq_f64_e64 s0, 0, v[7:8]
	s_and_b32 s2, vcc_lo, s0
	s_mov_b32 s0, -1
	s_and_saveexec_b32 s1, s2
	s_cbranch_execz .LBB34_2
; %bb.1:
	s_waitcnt vmcnt(0) lgkmcnt(0)
	v_cmp_neq_f64_e32 vcc_lo, 1.0, v[1:2]
	v_cmp_neq_f64_e64 s0, 0, v[3:4]
	s_or_b32 s0, vcc_lo, s0
	s_orn2_b32 s0, s0, exec_lo
.LBB34_2:
	s_or_b32 exec_lo, exec_lo, s1
	s_and_saveexec_b32 s1, s0
	s_cbranch_execz .LBB34_35
; %bb.3:
	s_clause 0x1
	s_load_dwordx4 s[0:3], s[4:5], 0x20
	s_load_dwordx2 s[10:11], s[4:5], 0x30
	s_waitcnt lgkmcnt(0)
	s_cmp_eq_u64 s[0:1], 0
	s_cbranch_scc1 .LBB34_5
; %bb.4:
	s_ashr_i32 s7, s6, 31
	s_lshl_b64 s[6:7], s[6:7], 2
	s_add_u32 s0, s0, s6
	s_addc_u32 s1, s1, s7
	s_load_dword s0, s[0:1], 0x0
	s_waitcnt lgkmcnt(0)
	s_sub_i32 s6, s0, s8
.LBB34_5:
	s_load_dword s1, s[4:5], 0x4
	v_mul_u32_u24_e32 v9, 0x3334, v0
	v_mov_b32_e32 v11, 0
	v_mov_b32_e32 v12, 0
	v_lshrrev_b32_e32 v13, 16, v9
	v_mul_lo_u16 v9, v13, 5
	v_sub_nc_u16 v18, v0, v9
	v_mov_b32_e32 v9, 0
	v_mov_b32_e32 v10, 0
	s_waitcnt lgkmcnt(0)
	s_cmp_eq_u32 s1, 1
	s_cselect_b32 s0, -1, 0
	s_cmp_lg_u32 s1, 1
	s_cselect_b32 s9, -1, 0
	s_ashr_i32 s7, s6, 31
	s_lshl_b64 s[12:13], s[6:7], 3
	s_add_u32 s2, s2, s12
	s_addc_u32 s3, s3, s13
	s_add_u32 s1, s2, 8
	s_addc_u32 s7, s3, 0
	;; [unrolled: 2-line block ×3, first 2 shown]
	s_cmp_eq_u64 s[10:11], 0
	s_cselect_b32 s11, s7, s13
	s_cselect_b32 s10, s1, s12
	s_load_dwordx2 s[12:13], s[2:3], 0x0
	s_load_dwordx2 s[14:15], s[10:11], 0x0
	;; [unrolled: 1-line block ×3, first 2 shown]
	s_waitcnt lgkmcnt(0)
	v_cmp_ge_i64_e64 s1, s[12:13], s[14:15]
	s_and_b32 vcc_lo, exec_lo, s1
	s_cbranch_vccnz .LBB34_10
; %bb.6:
	v_mul_lo_u16 v9, v13, 52
	v_mov_b32_e32 v11, 0xa3e
	v_mov_b32_e32 v10, 0
	s_clause 0x1
	s_load_dwordx2 s[10:11], s[4:5], 0x48
	s_load_dwordx4 s[16:19], s[4:5], 0x38
	v_and_b32_e32 v14, 0xffff, v18
	v_lshrrev_b16 v12, 8, v9
	v_mul_u32_u24_sdwa v11, v0, v11 dst_sel:DWORD dst_unused:UNUSED_PAD src0_sel:WORD_0 src1_sel:DWORD
	v_lshlrev_b32_e32 v9, 3, v0
	s_mul_i32 s5, s8, 0xc8
	s_mul_hi_u32 s1, s8, 0xc8
	v_mul_lo_u16 v12, v12, 5
	v_lshrrev_b32_e32 v19, 16, v11
	v_mad_u64_u32 v[9:10], null, 0xc8, s12, v[9:10]
	s_sub_u32 s4, s14, s8
	v_sub_nc_u16 v12, v13, v12
	v_add_co_u32 v15, s7, s12, v19
	v_add_co_ci_u32_e64 v16, null, s13, 0, s7
	v_and_b32_e32 v12, 0xff, v12
	v_mad_u64_u32 v[10:11], null, 0xc8, s13, v[10:11]
	v_sub_co_u32 v11, vcc_lo, v15, s8
	v_cndmask_b32_e64 v13, v14, v12, s0
	v_subrev_co_ci_u32_e64 v12, null, 0, v16, vcc_lo
	v_sub_co_u32 v14, vcc_lo, v9, s5
	v_subrev_co_ci_u32_e64 v15, null, s1, v10, vcc_lo
	v_lshlrev_b64 v[9:10], 2, v[11:12]
	v_mov_b32_e32 v11, 0
	v_mov_b32_e32 v12, 0
	s_waitcnt lgkmcnt(0)
	v_add_co_u32 v14, vcc_lo, s18, v14
	v_add_co_ci_u32_e64 v15, null, s19, v15, vcc_lo
	v_add_co_u32 v16, vcc_lo, s16, v9
	v_add_co_ci_u32_e64 v17, null, s17, v10, vcc_lo
	v_mov_b32_e32 v9, v11
	v_mov_b32_e32 v10, v12
	s_subb_u32 s5, s15, 0
	s_sub_u32 s0, s12, s8
	s_subb_u32 s1, s13, 0
	s_branch .LBB34_8
.LBB34_7:                               ;   in Loop: Header=BB34_8 Depth=1
	s_or_b32 exec_lo, exec_lo, s7
	s_add_u32 s0, s0, 2
	s_addc_u32 s1, s1, 0
	v_add_co_u32 v14, vcc_lo, 0x190, v14
	v_cmp_ge_i64_e64 s7, s[0:1], s[4:5]
	v_add_co_ci_u32_e64 v15, null, 0, v15, vcc_lo
	v_add_co_u32 v16, vcc_lo, v16, 8
	v_add_co_ci_u32_e64 v17, null, 0, v17, vcc_lo
	s_and_b32 vcc_lo, exec_lo, s7
	s_cbranch_vccnz .LBB34_10
.LBB34_8:                               ; =>This Inner Loop Header: Depth=1
	v_add_co_u32 v20, s7, v19, s0
	v_add_co_ci_u32_e64 v21, null, 0, s1, s7
	s_mov_b32 s7, exec_lo
	v_cmpx_gt_i64_e64 s[4:5], v[20:21]
	s_cbranch_execz .LBB34_7
; %bb.9:                                ;   in Loop: Header=BB34_8 Depth=1
	global_load_dword v20, v[16:17], off
	s_waitcnt vmcnt(0)
	v_subrev_nc_u32_e32 v20, s8, v20
	v_mad_u64_u32 v[20:21], null, v20, 5, v[13:14]
	v_ashrrev_i32_e32 v21, 31, v20
	v_lshlrev_b64 v[20:21], 4, v[20:21]
	v_add_co_u32 v20, vcc_lo, s10, v20
	v_add_co_ci_u32_e64 v21, null, s11, v21, vcc_lo
	global_load_dwordx2 v[24:25], v[14:15], off
	global_load_dwordx4 v[20:23], v[20:21], off
	s_waitcnt vmcnt(0)
	v_fma_f64 v[9:10], v[24:25], v[20:21], v[9:10]
	v_fma_f64 v[11:12], v[20:21], 0, v[11:12]
	;; [unrolled: 1-line block ×4, first 2 shown]
	s_branch .LBB34_7
.LBB34_10:
	v_lshlrev_b32_e32 v17, 4, v0
	s_and_b32 vcc_lo, exec_lo, s9
	ds_write_b128 v17, v[9:12]
	s_waitcnt vmcnt(0) lgkmcnt(0)
	buffer_gl0_inv
	s_cbranch_vccz .LBB34_20
; %bb.11:
	s_mov_b32 s0, exec_lo
	v_cmpx_gt_u32_e32 25, v0
	s_cbranch_execz .LBB34_13
; %bb.12:
	ds_read_b128 v[13:16], v17 offset:400
	ds_read_b128 v[19:22], v17
	s_waitcnt lgkmcnt(0)
	v_add_f64 v[13:14], v[13:14], v[19:20]
	v_add_f64 v[15:16], v[15:16], v[21:22]
	ds_write_b128 v17, v[13:16]
.LBB34_13:
	s_or_b32 exec_lo, exec_lo, s0
	s_mov_b32 s0, exec_lo
	s_waitcnt lgkmcnt(0)
	buffer_gl0_inv
	v_cmpx_eq_u16_e32 0, v18
	s_cbranch_execz .LBB34_15
; %bb.14:
	ds_read_b128 v[13:16], v17 offset:64
	ds_read_b128 v[19:22], v17
	s_waitcnt lgkmcnt(0)
	v_add_f64 v[13:14], v[13:14], v[19:20]
	v_add_f64 v[15:16], v[15:16], v[21:22]
	ds_write_b128 v17, v[13:16]
.LBB34_15:
	s_or_b32 exec_lo, exec_lo, s0
	s_mov_b32 s0, exec_lo
	s_waitcnt lgkmcnt(0)
	buffer_gl0_inv
	v_cmpx_gt_u16_e32 2, v18
	s_cbranch_execz .LBB34_17
; %bb.16:
	ds_read_b128 v[13:16], v17
	ds_read_b128 v[18:21], v17 offset:32
	s_waitcnt lgkmcnt(0)
	v_add_f64 v[13:14], v[18:19], v[13:14]
	v_add_f64 v[15:16], v[20:21], v[15:16]
	ds_write_b128 v17, v[13:16]
.LBB34_17:
	s_or_b32 exec_lo, exec_lo, s0
	v_mov_b32_e32 v16, v12
	v_mov_b32_e32 v14, v10
	;; [unrolled: 1-line block ×4, first 2 shown]
	s_mov_b32 s0, exec_lo
	s_waitcnt lgkmcnt(0)
	buffer_gl0_inv
	v_cmpx_gt_u32_e32 5, v0
	s_cbranch_execz .LBB34_19
; %bb.18:
	v_lshl_add_u32 v18, v0, 6, v17
	ds_read_b128 v[13:16], v18
	ds_read_b128 v[18:21], v18 offset:16
	s_waitcnt lgkmcnt(0)
	v_add_f64 v[13:14], v[18:19], v[13:14]
	v_add_f64 v[15:16], v[20:21], v[15:16]
.LBB34_19:
	s_or_b32 exec_lo, exec_lo, s0
	s_branch .LBB34_30
.LBB34_20:
                                        ; implicit-def: $vgpr15_vgpr16
                                        ; implicit-def: $vgpr13_vgpr14
	s_cbranch_execz .LBB34_30
; %bb.21:
	v_cmp_gt_u32_e32 vcc_lo, 10, v0
	s_and_saveexec_b32 s0, vcc_lo
	s_cbranch_execz .LBB34_23
; %bb.22:
	ds_read_b128 v[13:16], v17 offset:640
	ds_read_b128 v[18:21], v17
	s_waitcnt lgkmcnt(0)
	v_add_f64 v[13:14], v[13:14], v[18:19]
	v_add_f64 v[15:16], v[15:16], v[20:21]
	ds_write_b128 v17, v[13:16]
.LBB34_23:
	s_or_b32 exec_lo, exec_lo, s0
	s_mov_b32 s1, exec_lo
	s_waitcnt lgkmcnt(0)
	buffer_gl0_inv
	v_cmpx_gt_u32_e32 20, v0
	s_cbranch_execz .LBB34_25
; %bb.24:
	ds_read_b128 v[13:16], v17 offset:320
	ds_read_b128 v[18:21], v17
	s_waitcnt lgkmcnt(0)
	v_add_f64 v[13:14], v[13:14], v[18:19]
	v_add_f64 v[15:16], v[15:16], v[20:21]
	ds_write_b128 v17, v[13:16]
.LBB34_25:
	s_or_b32 exec_lo, exec_lo, s1
	s_waitcnt lgkmcnt(0)
	buffer_gl0_inv
	s_and_saveexec_b32 s0, vcc_lo
	s_cbranch_execz .LBB34_27
; %bb.26:
	ds_read_b128 v[13:16], v17 offset:160
	ds_read_b128 v[18:21], v17
	s_waitcnt lgkmcnt(0)
	v_add_f64 v[13:14], v[13:14], v[18:19]
	v_add_f64 v[15:16], v[15:16], v[20:21]
	ds_write_b128 v17, v[13:16]
.LBB34_27:
	s_or_b32 exec_lo, exec_lo, s0
	s_mov_b32 s0, exec_lo
	s_waitcnt lgkmcnt(0)
	buffer_gl0_inv
	v_cmpx_gt_u32_e32 5, v0
	s_cbranch_execz .LBB34_29
; %bb.28:
	ds_read_b128 v[9:12], v17 offset:80
	ds_read_b128 v[13:16], v17
	s_waitcnt lgkmcnt(0)
	v_add_f64 v[9:10], v[9:10], v[13:14]
	v_add_f64 v[11:12], v[11:12], v[15:16]
.LBB34_29:
	s_or_b32 exec_lo, exec_lo, s0
	v_mov_b32_e32 v16, v12
	v_mov_b32_e32 v14, v10
	;; [unrolled: 1-line block ×4, first 2 shown]
.LBB34_30:
	v_cmp_gt_u32_e32 vcc_lo, 5, v0
	s_and_b32 exec_lo, exec_lo, vcc_lo
	s_cbranch_execz .LBB34_35
; %bb.31:
	v_mul_f64 v[9:10], v[15:16], -v[7:8]
	v_mul_f64 v[11:12], v[5:6], v[15:16]
	v_cmp_eq_f64_e32 vcc_lo, 0, v[1:2]
	v_cmp_eq_f64_e64 s0, 0, v[3:4]
	v_fma_f64 v[5:6], v[5:6], v[13:14], v[9:10]
	v_fma_f64 v[7:8], v[7:8], v[13:14], v[11:12]
	s_and_b32 s0, vcc_lo, s0
	s_and_saveexec_b32 s1, s0
	s_xor_b32 s0, exec_lo, s1
	s_cbranch_execz .LBB34_33
; %bb.32:
	v_mad_u64_u32 v[0:1], null, s6, 5, v[0:1]
	v_mov_b32_e32 v1, 0
	v_lshlrev_b64 v[0:1], 4, v[0:1]
	v_add_co_u32 v0, vcc_lo, s2, v0
	v_add_co_ci_u32_e64 v1, null, s3, v1, vcc_lo
	global_store_dwordx4 v[0:1], v[5:8], off
                                        ; implicit-def: $vgpr0
                                        ; implicit-def: $vgpr1_vgpr2
                                        ; implicit-def: $vgpr5_vgpr6
.LBB34_33:
	s_andn2_saveexec_b32 s0, s0
	s_cbranch_execz .LBB34_35
; %bb.34:
	v_mad_u64_u32 v[9:10], null, s6, 5, v[0:1]
	v_mov_b32_e32 v10, 0
	v_lshlrev_b64 v[9:10], 4, v[9:10]
	v_add_co_u32 v13, vcc_lo, s2, v9
	v_add_co_ci_u32_e64 v14, null, s3, v10, vcc_lo
	global_load_dwordx4 v[9:12], v[13:14], off
	s_waitcnt vmcnt(0)
	v_fma_f64 v[5:6], v[1:2], v[9:10], v[5:6]
	v_fma_f64 v[7:8], v[3:4], v[9:10], v[7:8]
	v_fma_f64 v[3:4], -v[3:4], v[11:12], v[5:6]
	v_fma_f64 v[5:6], v[1:2], v[11:12], v[7:8]
	global_store_dwordx4 v[13:14], v[3:6], off
.LBB34_35:
	s_endpgm
	.section	.rodata,"a",@progbits
	.p2align	6, 0x0
	.amdhsa_kernel _ZN9rocsparseL18bsrxmvn_5x5_kernelILj50E21rocsparse_complex_numIdElidS2_S2_EEvT2_20rocsparse_direction_NS_24const_host_device_scalarIT0_EES3_PKS3_PKT1_SC_S9_PKT3_PKT4_S7_PT5_21rocsparse_index_base_b
		.amdhsa_group_segment_fixed_size 800
		.amdhsa_private_segment_fixed_size 0
		.amdhsa_kernarg_size 112
		.amdhsa_user_sgpr_count 6
		.amdhsa_user_sgpr_private_segment_buffer 1
		.amdhsa_user_sgpr_dispatch_ptr 0
		.amdhsa_user_sgpr_queue_ptr 0
		.amdhsa_user_sgpr_kernarg_segment_ptr 1
		.amdhsa_user_sgpr_dispatch_id 0
		.amdhsa_user_sgpr_flat_scratch_init 0
		.amdhsa_user_sgpr_private_segment_size 0
		.amdhsa_wavefront_size32 1
		.amdhsa_uses_dynamic_stack 0
		.amdhsa_system_sgpr_private_segment_wavefront_offset 0
		.amdhsa_system_sgpr_workgroup_id_x 1
		.amdhsa_system_sgpr_workgroup_id_y 0
		.amdhsa_system_sgpr_workgroup_id_z 0
		.amdhsa_system_sgpr_workgroup_info 0
		.amdhsa_system_vgpr_workitem_id 0
		.amdhsa_next_free_vgpr 26
		.amdhsa_next_free_sgpr 20
		.amdhsa_reserve_vcc 1
		.amdhsa_reserve_flat_scratch 0
		.amdhsa_float_round_mode_32 0
		.amdhsa_float_round_mode_16_64 0
		.amdhsa_float_denorm_mode_32 3
		.amdhsa_float_denorm_mode_16_64 3
		.amdhsa_dx10_clamp 1
		.amdhsa_ieee_mode 1
		.amdhsa_fp16_overflow 0
		.amdhsa_workgroup_processor_mode 1
		.amdhsa_memory_ordered 1
		.amdhsa_forward_progress 1
		.amdhsa_shared_vgpr_count 0
		.amdhsa_exception_fp_ieee_invalid_op 0
		.amdhsa_exception_fp_denorm_src 0
		.amdhsa_exception_fp_ieee_div_zero 0
		.amdhsa_exception_fp_ieee_overflow 0
		.amdhsa_exception_fp_ieee_underflow 0
		.amdhsa_exception_fp_ieee_inexact 0
		.amdhsa_exception_int_div_zero 0
	.end_amdhsa_kernel
	.section	.text._ZN9rocsparseL18bsrxmvn_5x5_kernelILj50E21rocsparse_complex_numIdElidS2_S2_EEvT2_20rocsparse_direction_NS_24const_host_device_scalarIT0_EES3_PKS3_PKT1_SC_S9_PKT3_PKT4_S7_PT5_21rocsparse_index_base_b,"axG",@progbits,_ZN9rocsparseL18bsrxmvn_5x5_kernelILj50E21rocsparse_complex_numIdElidS2_S2_EEvT2_20rocsparse_direction_NS_24const_host_device_scalarIT0_EES3_PKS3_PKT1_SC_S9_PKT3_PKT4_S7_PT5_21rocsparse_index_base_b,comdat
.Lfunc_end34:
	.size	_ZN9rocsparseL18bsrxmvn_5x5_kernelILj50E21rocsparse_complex_numIdElidS2_S2_EEvT2_20rocsparse_direction_NS_24const_host_device_scalarIT0_EES3_PKS3_PKT1_SC_S9_PKT3_PKT4_S7_PT5_21rocsparse_index_base_b, .Lfunc_end34-_ZN9rocsparseL18bsrxmvn_5x5_kernelILj50E21rocsparse_complex_numIdElidS2_S2_EEvT2_20rocsparse_direction_NS_24const_host_device_scalarIT0_EES3_PKS3_PKT1_SC_S9_PKT3_PKT4_S7_PT5_21rocsparse_index_base_b
                                        ; -- End function
	.set _ZN9rocsparseL18bsrxmvn_5x5_kernelILj50E21rocsparse_complex_numIdElidS2_S2_EEvT2_20rocsparse_direction_NS_24const_host_device_scalarIT0_EES3_PKS3_PKT1_SC_S9_PKT3_PKT4_S7_PT5_21rocsparse_index_base_b.num_vgpr, 26
	.set _ZN9rocsparseL18bsrxmvn_5x5_kernelILj50E21rocsparse_complex_numIdElidS2_S2_EEvT2_20rocsparse_direction_NS_24const_host_device_scalarIT0_EES3_PKS3_PKT1_SC_S9_PKT3_PKT4_S7_PT5_21rocsparse_index_base_b.num_agpr, 0
	.set _ZN9rocsparseL18bsrxmvn_5x5_kernelILj50E21rocsparse_complex_numIdElidS2_S2_EEvT2_20rocsparse_direction_NS_24const_host_device_scalarIT0_EES3_PKS3_PKT1_SC_S9_PKT3_PKT4_S7_PT5_21rocsparse_index_base_b.numbered_sgpr, 20
	.set _ZN9rocsparseL18bsrxmvn_5x5_kernelILj50E21rocsparse_complex_numIdElidS2_S2_EEvT2_20rocsparse_direction_NS_24const_host_device_scalarIT0_EES3_PKS3_PKT1_SC_S9_PKT3_PKT4_S7_PT5_21rocsparse_index_base_b.num_named_barrier, 0
	.set _ZN9rocsparseL18bsrxmvn_5x5_kernelILj50E21rocsparse_complex_numIdElidS2_S2_EEvT2_20rocsparse_direction_NS_24const_host_device_scalarIT0_EES3_PKS3_PKT1_SC_S9_PKT3_PKT4_S7_PT5_21rocsparse_index_base_b.private_seg_size, 0
	.set _ZN9rocsparseL18bsrxmvn_5x5_kernelILj50E21rocsparse_complex_numIdElidS2_S2_EEvT2_20rocsparse_direction_NS_24const_host_device_scalarIT0_EES3_PKS3_PKT1_SC_S9_PKT3_PKT4_S7_PT5_21rocsparse_index_base_b.uses_vcc, 1
	.set _ZN9rocsparseL18bsrxmvn_5x5_kernelILj50E21rocsparse_complex_numIdElidS2_S2_EEvT2_20rocsparse_direction_NS_24const_host_device_scalarIT0_EES3_PKS3_PKT1_SC_S9_PKT3_PKT4_S7_PT5_21rocsparse_index_base_b.uses_flat_scratch, 0
	.set _ZN9rocsparseL18bsrxmvn_5x5_kernelILj50E21rocsparse_complex_numIdElidS2_S2_EEvT2_20rocsparse_direction_NS_24const_host_device_scalarIT0_EES3_PKS3_PKT1_SC_S9_PKT3_PKT4_S7_PT5_21rocsparse_index_base_b.has_dyn_sized_stack, 0
	.set _ZN9rocsparseL18bsrxmvn_5x5_kernelILj50E21rocsparse_complex_numIdElidS2_S2_EEvT2_20rocsparse_direction_NS_24const_host_device_scalarIT0_EES3_PKS3_PKT1_SC_S9_PKT3_PKT4_S7_PT5_21rocsparse_index_base_b.has_recursion, 0
	.set _ZN9rocsparseL18bsrxmvn_5x5_kernelILj50E21rocsparse_complex_numIdElidS2_S2_EEvT2_20rocsparse_direction_NS_24const_host_device_scalarIT0_EES3_PKS3_PKT1_SC_S9_PKT3_PKT4_S7_PT5_21rocsparse_index_base_b.has_indirect_call, 0
	.section	.AMDGPU.csdata,"",@progbits
; Kernel info:
; codeLenInByte = 1704
; TotalNumSgprs: 22
; NumVgprs: 26
; ScratchSize: 0
; MemoryBound: 0
; FloatMode: 240
; IeeeMode: 1
; LDSByteSize: 800 bytes/workgroup (compile time only)
; SGPRBlocks: 0
; VGPRBlocks: 3
; NumSGPRsForWavesPerEU: 22
; NumVGPRsForWavesPerEU: 26
; Occupancy: 16
; WaveLimiterHint : 1
; COMPUTE_PGM_RSRC2:SCRATCH_EN: 0
; COMPUTE_PGM_RSRC2:USER_SGPR: 6
; COMPUTE_PGM_RSRC2:TRAP_HANDLER: 0
; COMPUTE_PGM_RSRC2:TGID_X_EN: 1
; COMPUTE_PGM_RSRC2:TGID_Y_EN: 0
; COMPUTE_PGM_RSRC2:TGID_Z_EN: 0
; COMPUTE_PGM_RSRC2:TIDIG_COMP_CNT: 0
	.section	.text._ZN9rocsparseL18bsrxmvn_5x5_kernelILj50E21rocsparse_complex_numIdElldS2_S2_EEvT2_20rocsparse_direction_NS_24const_host_device_scalarIT0_EES3_PKS3_PKT1_SC_S9_PKT3_PKT4_S7_PT5_21rocsparse_index_base_b,"axG",@progbits,_ZN9rocsparseL18bsrxmvn_5x5_kernelILj50E21rocsparse_complex_numIdElldS2_S2_EEvT2_20rocsparse_direction_NS_24const_host_device_scalarIT0_EES3_PKS3_PKT1_SC_S9_PKT3_PKT4_S7_PT5_21rocsparse_index_base_b,comdat
	.globl	_ZN9rocsparseL18bsrxmvn_5x5_kernelILj50E21rocsparse_complex_numIdElldS2_S2_EEvT2_20rocsparse_direction_NS_24const_host_device_scalarIT0_EES3_PKS3_PKT1_SC_S9_PKT3_PKT4_S7_PT5_21rocsparse_index_base_b ; -- Begin function _ZN9rocsparseL18bsrxmvn_5x5_kernelILj50E21rocsparse_complex_numIdElldS2_S2_EEvT2_20rocsparse_direction_NS_24const_host_device_scalarIT0_EES3_PKS3_PKT1_SC_S9_PKT3_PKT4_S7_PT5_21rocsparse_index_base_b
	.p2align	8
	.type	_ZN9rocsparseL18bsrxmvn_5x5_kernelILj50E21rocsparse_complex_numIdElldS2_S2_EEvT2_20rocsparse_direction_NS_24const_host_device_scalarIT0_EES3_PKS3_PKT1_SC_S9_PKT3_PKT4_S7_PT5_21rocsparse_index_base_b,@function
_ZN9rocsparseL18bsrxmvn_5x5_kernelILj50E21rocsparse_complex_numIdElldS2_S2_EEvT2_20rocsparse_direction_NS_24const_host_device_scalarIT0_EES3_PKS3_PKT1_SC_S9_PKT3_PKT4_S7_PT5_21rocsparse_index_base_b: ; @_ZN9rocsparseL18bsrxmvn_5x5_kernelILj50E21rocsparse_complex_numIdElldS2_S2_EEvT2_20rocsparse_direction_NS_24const_host_device_scalarIT0_EES3_PKS3_PKT1_SC_S9_PKT3_PKT4_S7_PT5_21rocsparse_index_base_b
; %bb.0:
	s_clause 0x1
	s_load_dwordx2 s[12:13], s[4:5], 0x70
	s_load_dwordx2 s[0:1], s[4:5], 0x10
	s_add_u32 s7, s4, 16
	s_addc_u32 s8, s5, 0
	s_add_u32 s9, s4, 0x58
	s_addc_u32 s10, s5, 0
	s_load_dwordx2 s[2:3], s[4:5], 0x58
	s_waitcnt lgkmcnt(0)
	s_bitcmp1_b32 s13, 0
	s_cselect_b32 s0, s7, s0
	s_cselect_b32 s1, s8, s1
	v_mov_b32_e32 v1, s0
	v_mov_b32_e32 v2, s1
	s_cselect_b32 s0, s9, s2
	s_cselect_b32 s1, s10, s3
	flat_load_dwordx4 v[6:9], v[1:2]
	v_mov_b32_e32 v1, s0
	v_mov_b32_e32 v2, s1
	flat_load_dwordx4 v[2:5], v[1:2]
	s_waitcnt vmcnt(1) lgkmcnt(1)
	v_cmp_eq_f64_e32 vcc_lo, 0, v[6:7]
	v_cmp_eq_f64_e64 s0, 0, v[8:9]
	s_and_b32 s2, vcc_lo, s0
	s_mov_b32 s0, -1
	s_and_saveexec_b32 s1, s2
	s_cbranch_execz .LBB35_2
; %bb.1:
	s_waitcnt vmcnt(0) lgkmcnt(0)
	v_cmp_neq_f64_e32 vcc_lo, 1.0, v[2:3]
	v_cmp_neq_f64_e64 s0, 0, v[4:5]
	s_or_b32 s0, vcc_lo, s0
	s_orn2_b32 s0, s0, exec_lo
.LBB35_2:
	s_or_b32 exec_lo, exec_lo, s1
	s_and_saveexec_b32 s1, s0
	s_cbranch_execz .LBB35_38
; %bb.3:
	s_clause 0x1
	s_load_dwordx4 s[0:3], s[4:5], 0x28
	s_load_dwordx2 s[8:9], s[4:5], 0x38
	s_mov_b32 s7, 0
	s_waitcnt lgkmcnt(0)
	s_cmp_eq_u64 s[0:1], 0
	s_cbranch_scc1 .LBB35_5
; %bb.4:
	s_lshl_b64 s[6:7], s[6:7], 3
	s_add_u32 s0, s0, s6
	s_addc_u32 s1, s1, s7
	s_load_dwordx2 s[0:1], s[0:1], 0x0
	s_waitcnt lgkmcnt(0)
	s_sub_u32 s6, s0, s12
	s_subb_u32 s7, s1, 0
.LBB35_5:
	s_load_dword s1, s[4:5], 0x8
	v_mul_u32_u24_e32 v1, 0x3334, v0
	v_lshrrev_b32_e32 v14, 16, v1
	v_mul_lo_u16 v15, v14, 5
	s_waitcnt lgkmcnt(0)
	s_cmp_eq_u32 s1, 1
	s_cselect_b32 s0, -1, 0
	s_cmp_lg_u32 s1, 1
	s_cselect_b32 s13, -1, 0
	s_lshl_b64 s[10:11], s[6:7], 3
	s_add_u32 s2, s2, s10
	s_addc_u32 s3, s3, s11
	s_add_u32 s1, s2, 8
	s_addc_u32 s14, s3, 0
	;; [unrolled: 2-line block ×3, first 2 shown]
	s_cmp_eq_u64 s[8:9], 0
	s_cselect_b32 s9, s14, s11
	s_cselect_b32 s8, s1, s10
	s_load_dwordx2 s[14:15], s[2:3], 0x0
	s_load_dwordx2 s[16:17], s[8:9], 0x0
	s_waitcnt lgkmcnt(0)
	v_cmp_lt_i64_e64 s1, s[14:15], s[16:17]
	s_and_b32 vcc_lo, exec_lo, s1
	s_cbranch_vccnz .LBB35_7
; %bb.6:
	v_mov_b32_e32 v1, 0
	s_mov_b32 s1, 0
	s_branch .LBB35_8
.LBB35_7:
	s_mov_b32 s1, -1
.LBB35_8:
	s_load_dwordx2 s[2:3], s[4:5], 0x68
	v_mov_b32_e32 v12, 0
	v_mov_b32_e32 v10, 0
	;; [unrolled: 1-line block ×4, first 2 shown]
	v_sub_nc_u16 v20, v0, v15
	s_andn2_b32 vcc_lo, exec_lo, s1
	s_cbranch_vccnz .LBB35_13
; %bb.9:
	v_mul_lo_u16 v1, v14, 52
	v_mov_b32_e32 v10, 0xa3e
	v_and_b32_e32 v12, 0xffff, v20
	s_clause 0x1
	s_load_dwordx2 s[18:19], s[4:5], 0x50
	s_load_dwordx4 s[8:11], s[4:5], 0x40
	s_mul_i32 s5, s12, 0xc8
	v_lshrrev_b16 v1, 8, v1
	v_mul_u32_u24_sdwa v13, v0, v10 dst_sel:DWORD dst_unused:UNUSED_PAD src0_sel:WORD_0 src1_sel:DWORD
	v_lshlrev_b32_e32 v10, 3, v0
	s_mul_hi_u32 s1, s12, 0xc8
	s_sub_u32 s4, s16, s12
	v_mul_lo_u16 v11, v1, 5
	v_mov_b32_e32 v1, 0
	v_lshrrev_b32_e32 v21, 16, v13
	v_sub_nc_u16 v14, v14, v11
	v_mov_b32_e32 v11, v1
	v_and_b32_e32 v13, 0xff, v14
	v_mad_u64_u32 v[10:11], null, 0xc8, s14, v[10:11]
	v_cndmask_b32_e64 v12, v12, v13, s0
	v_add_co_u32 v13, s0, s14, v21
	v_add_co_ci_u32_e64 v14, null, s15, 0, s0
	v_lshlrev_b32_e32 v15, 4, v12
	v_sub_co_u32 v12, vcc_lo, v13, s12
	v_subrev_co_ci_u32_e64 v13, null, 0, v14, vcc_lo
	s_waitcnt lgkmcnt(0)
	v_add_co_u32 v14, s0, s18, v15
	v_mad_u64_u32 v[16:17], null, 0xc8, s15, v[11:12]
	v_sub_co_u32 v17, vcc_lo, v10, s5
	v_lshlrev_b64 v[10:11], 3, v[12:13]
	v_mov_b32_e32 v12, 0
	v_mov_b32_e32 v13, 0
	v_add_co_ci_u32_e64 v15, null, s19, 0, s0
	v_subrev_co_ci_u32_e64 v18, null, s1, v16, vcc_lo
	v_add_co_u32 v16, vcc_lo, s10, v17
	s_subb_u32 s5, s17, 0
	v_add_co_ci_u32_e64 v17, null, s11, v18, vcc_lo
	v_add_co_u32 v18, vcc_lo, s8, v10
	v_add_co_ci_u32_e64 v19, null, s9, v11, vcc_lo
	v_mov_b32_e32 v10, v12
	v_mov_b32_e32 v11, v13
	s_sub_u32 s0, s14, s12
	s_subb_u32 s1, s15, 0
	s_branch .LBB35_11
.LBB35_10:                              ;   in Loop: Header=BB35_11 Depth=1
	s_or_b32 exec_lo, exec_lo, s8
	s_add_u32 s0, s0, 2
	s_addc_u32 s1, s1, 0
	v_add_co_u32 v16, vcc_lo, 0x190, v16
	v_cmp_ge_i64_e64 s8, s[0:1], s[4:5]
	v_add_co_ci_u32_e64 v17, null, 0, v17, vcc_lo
	v_add_co_u32 v18, vcc_lo, v18, 16
	v_add_co_ci_u32_e64 v19, null, 0, v19, vcc_lo
	s_and_b32 vcc_lo, exec_lo, s8
	s_cbranch_vccnz .LBB35_13
.LBB35_11:                              ; =>This Inner Loop Header: Depth=1
	v_add_co_u32 v22, s8, v21, s0
	v_add_co_ci_u32_e64 v23, null, 0, s1, s8
	s_mov_b32 s8, exec_lo
	v_cmpx_gt_i64_e64 s[4:5], v[22:23]
	s_cbranch_execz .LBB35_10
; %bb.12:                               ;   in Loop: Header=BB35_11 Depth=1
	global_load_dwordx2 v[22:23], v[18:19], off
	s_waitcnt vmcnt(0)
	v_sub_co_u32 v22, vcc_lo, v22, s12
	v_subrev_co_ci_u32_e64 v24, null, 0, v23, vcc_lo
	v_mad_u64_u32 v[22:23], null, 0x50, v22, v[14:15]
	v_mad_u64_u32 v[23:24], null, 0x50, v24, v[23:24]
	global_load_dwordx2 v[26:27], v[16:17], off
	global_load_dwordx4 v[22:25], v[22:23], off
	s_waitcnt vmcnt(0)
	v_fma_f64 v[10:11], v[26:27], v[22:23], v[10:11]
	v_fma_f64 v[12:13], v[22:23], 0, v[12:13]
	;; [unrolled: 1-line block ×4, first 2 shown]
	s_branch .LBB35_10
.LBB35_13:
	v_lshlrev_b32_e32 v18, 4, v0
	s_and_b32 vcc_lo, exec_lo, s13
	ds_write_b128 v18, v[10:13]
	s_waitcnt vmcnt(0) lgkmcnt(0)
	buffer_gl0_inv
	s_cbranch_vccz .LBB35_23
; %bb.14:
	s_mov_b32 s0, exec_lo
	v_cmpx_gt_u32_e32 25, v0
	s_cbranch_execz .LBB35_16
; %bb.15:
	ds_read_b128 v[14:17], v18 offset:400
	ds_read_b128 v[21:24], v18
	s_waitcnt lgkmcnt(0)
	v_add_f64 v[14:15], v[14:15], v[21:22]
	v_add_f64 v[16:17], v[16:17], v[23:24]
	ds_write_b128 v18, v[14:17]
.LBB35_16:
	s_or_b32 exec_lo, exec_lo, s0
	s_mov_b32 s0, exec_lo
	s_waitcnt lgkmcnt(0)
	buffer_gl0_inv
	v_cmpx_eq_u16_e32 0, v20
	s_cbranch_execz .LBB35_18
; %bb.17:
	ds_read_b128 v[14:17], v18 offset:64
	ds_read_b128 v[21:24], v18
	s_waitcnt lgkmcnt(0)
	v_add_f64 v[14:15], v[14:15], v[21:22]
	v_add_f64 v[16:17], v[16:17], v[23:24]
	ds_write_b128 v18, v[14:17]
.LBB35_18:
	s_or_b32 exec_lo, exec_lo, s0
	s_mov_b32 s0, exec_lo
	s_waitcnt lgkmcnt(0)
	buffer_gl0_inv
	v_cmpx_gt_u16_e32 2, v20
	s_cbranch_execz .LBB35_20
; %bb.19:
	ds_read_b128 v[14:17], v18
	ds_read_b128 v[19:22], v18 offset:32
	s_waitcnt lgkmcnt(0)
	v_add_f64 v[14:15], v[19:20], v[14:15]
	v_add_f64 v[16:17], v[21:22], v[16:17]
	ds_write_b128 v18, v[14:17]
.LBB35_20:
	s_or_b32 exec_lo, exec_lo, s0
	v_mov_b32_e32 v17, v13
	v_mov_b32_e32 v15, v11
	v_mov_b32_e32 v16, v12
	v_mov_b32_e32 v14, v10
	s_mov_b32 s0, exec_lo
	s_waitcnt lgkmcnt(0)
	buffer_gl0_inv
	v_cmpx_gt_u32_e32 5, v0
	s_cbranch_execz .LBB35_22
; %bb.21:
	v_lshl_add_u32 v19, v0, 6, v18
	ds_read_b128 v[14:17], v19
	ds_read_b128 v[19:22], v19 offset:16
	s_waitcnt lgkmcnt(0)
	v_add_f64 v[14:15], v[19:20], v[14:15]
	v_add_f64 v[16:17], v[21:22], v[16:17]
.LBB35_22:
	s_or_b32 exec_lo, exec_lo, s0
	s_branch .LBB35_33
.LBB35_23:
                                        ; implicit-def: $vgpr16_vgpr17
                                        ; implicit-def: $vgpr14_vgpr15
	s_cbranch_execz .LBB35_33
; %bb.24:
	v_cmp_gt_u32_e32 vcc_lo, 10, v0
	s_and_saveexec_b32 s0, vcc_lo
	s_cbranch_execz .LBB35_26
; %bb.25:
	ds_read_b128 v[14:17], v18 offset:640
	ds_read_b128 v[19:22], v18
	s_waitcnt lgkmcnt(0)
	v_add_f64 v[14:15], v[14:15], v[19:20]
	v_add_f64 v[16:17], v[16:17], v[21:22]
	ds_write_b128 v18, v[14:17]
.LBB35_26:
	s_or_b32 exec_lo, exec_lo, s0
	s_mov_b32 s1, exec_lo
	s_waitcnt lgkmcnt(0)
	buffer_gl0_inv
	v_cmpx_gt_u32_e32 20, v0
	s_cbranch_execz .LBB35_28
; %bb.27:
	ds_read_b128 v[14:17], v18 offset:320
	ds_read_b128 v[19:22], v18
	s_waitcnt lgkmcnt(0)
	v_add_f64 v[14:15], v[14:15], v[19:20]
	v_add_f64 v[16:17], v[16:17], v[21:22]
	ds_write_b128 v18, v[14:17]
.LBB35_28:
	s_or_b32 exec_lo, exec_lo, s1
	s_waitcnt lgkmcnt(0)
	buffer_gl0_inv
	s_and_saveexec_b32 s0, vcc_lo
	s_cbranch_execz .LBB35_30
; %bb.29:
	ds_read_b128 v[14:17], v18 offset:160
	ds_read_b128 v[19:22], v18
	s_waitcnt lgkmcnt(0)
	v_add_f64 v[14:15], v[14:15], v[19:20]
	v_add_f64 v[16:17], v[16:17], v[21:22]
	ds_write_b128 v18, v[14:17]
.LBB35_30:
	s_or_b32 exec_lo, exec_lo, s0
	s_mov_b32 s0, exec_lo
	s_waitcnt lgkmcnt(0)
	buffer_gl0_inv
	v_cmpx_gt_u32_e32 5, v0
	s_cbranch_execz .LBB35_32
; %bb.31:
	ds_read_b128 v[10:13], v18 offset:80
	ds_read_b128 v[14:17], v18
	s_waitcnt lgkmcnt(0)
	v_add_f64 v[10:11], v[10:11], v[14:15]
	v_add_f64 v[12:13], v[12:13], v[16:17]
.LBB35_32:
	s_or_b32 exec_lo, exec_lo, s0
	v_mov_b32_e32 v17, v13
	v_mov_b32_e32 v15, v11
	;; [unrolled: 1-line block ×4, first 2 shown]
.LBB35_33:
	v_cmp_gt_u32_e32 vcc_lo, 5, v0
	s_and_b32 exec_lo, exec_lo, vcc_lo
	s_cbranch_execz .LBB35_38
; %bb.34:
	v_mul_f64 v[10:11], v[16:17], -v[8:9]
	v_mul_f64 v[12:13], v[6:7], v[16:17]
	v_cmp_eq_f64_e32 vcc_lo, 0, v[2:3]
	v_cmp_eq_f64_e64 s0, 0, v[4:5]
	v_lshlrev_b64 v[0:1], 4, v[0:1]
	s_mul_hi_u32 s1, s6, 0x50
	s_mul_i32 s4, s6, 0x50
	v_fma_f64 v[6:7], v[6:7], v[14:15], v[10:11]
	v_fma_f64 v[8:9], v[8:9], v[14:15], v[12:13]
	s_and_b32 s5, vcc_lo, s0
	s_mul_i32 s0, s7, 0x50
	s_and_saveexec_b32 s6, s5
	s_xor_b32 s5, exec_lo, s6
	s_cbranch_execz .LBB35_36
; %bb.35:
	s_add_i32 s6, s1, s0
	s_add_u32 s7, s2, s4
	s_addc_u32 s6, s3, s6
	v_add_co_u32 v0, vcc_lo, s7, v0
	v_add_co_ci_u32_e64 v1, null, s6, v1, vcc_lo
                                        ; implicit-def: $vgpr2_vgpr3
	global_store_dwordx4 v[0:1], v[6:9], off
                                        ; implicit-def: $vgpr0_vgpr1
                                        ; implicit-def: $vgpr6_vgpr7
.LBB35_36:
	s_andn2_saveexec_b32 s5, s5
	s_cbranch_execz .LBB35_38
; %bb.37:
	s_add_i32 s1, s1, s0
	s_add_u32 s0, s2, s4
	s_addc_u32 s1, s3, s1
	v_add_co_u32 v14, vcc_lo, s0, v0
	v_add_co_ci_u32_e64 v15, null, s1, v1, vcc_lo
	global_load_dwordx4 v[10:13], v[14:15], off
	s_waitcnt vmcnt(0)
	v_fma_f64 v[0:1], v[2:3], v[10:11], v[6:7]
	v_fma_f64 v[6:7], v[4:5], v[10:11], v[8:9]
	v_fma_f64 v[0:1], -v[4:5], v[12:13], v[0:1]
	v_fma_f64 v[2:3], v[2:3], v[12:13], v[6:7]
	global_store_dwordx4 v[14:15], v[0:3], off
.LBB35_38:
	s_endpgm
	.section	.rodata,"a",@progbits
	.p2align	6, 0x0
	.amdhsa_kernel _ZN9rocsparseL18bsrxmvn_5x5_kernelILj50E21rocsparse_complex_numIdElldS2_S2_EEvT2_20rocsparse_direction_NS_24const_host_device_scalarIT0_EES3_PKS3_PKT1_SC_S9_PKT3_PKT4_S7_PT5_21rocsparse_index_base_b
		.amdhsa_group_segment_fixed_size 800
		.amdhsa_private_segment_fixed_size 0
		.amdhsa_kernarg_size 120
		.amdhsa_user_sgpr_count 6
		.amdhsa_user_sgpr_private_segment_buffer 1
		.amdhsa_user_sgpr_dispatch_ptr 0
		.amdhsa_user_sgpr_queue_ptr 0
		.amdhsa_user_sgpr_kernarg_segment_ptr 1
		.amdhsa_user_sgpr_dispatch_id 0
		.amdhsa_user_sgpr_flat_scratch_init 0
		.amdhsa_user_sgpr_private_segment_size 0
		.amdhsa_wavefront_size32 1
		.amdhsa_uses_dynamic_stack 0
		.amdhsa_system_sgpr_private_segment_wavefront_offset 0
		.amdhsa_system_sgpr_workgroup_id_x 1
		.amdhsa_system_sgpr_workgroup_id_y 0
		.amdhsa_system_sgpr_workgroup_id_z 0
		.amdhsa_system_sgpr_workgroup_info 0
		.amdhsa_system_vgpr_workitem_id 0
		.amdhsa_next_free_vgpr 28
		.amdhsa_next_free_sgpr 20
		.amdhsa_reserve_vcc 1
		.amdhsa_reserve_flat_scratch 0
		.amdhsa_float_round_mode_32 0
		.amdhsa_float_round_mode_16_64 0
		.amdhsa_float_denorm_mode_32 3
		.amdhsa_float_denorm_mode_16_64 3
		.amdhsa_dx10_clamp 1
		.amdhsa_ieee_mode 1
		.amdhsa_fp16_overflow 0
		.amdhsa_workgroup_processor_mode 1
		.amdhsa_memory_ordered 1
		.amdhsa_forward_progress 1
		.amdhsa_shared_vgpr_count 0
		.amdhsa_exception_fp_ieee_invalid_op 0
		.amdhsa_exception_fp_denorm_src 0
		.amdhsa_exception_fp_ieee_div_zero 0
		.amdhsa_exception_fp_ieee_overflow 0
		.amdhsa_exception_fp_ieee_underflow 0
		.amdhsa_exception_fp_ieee_inexact 0
		.amdhsa_exception_int_div_zero 0
	.end_amdhsa_kernel
	.section	.text._ZN9rocsparseL18bsrxmvn_5x5_kernelILj50E21rocsparse_complex_numIdElldS2_S2_EEvT2_20rocsparse_direction_NS_24const_host_device_scalarIT0_EES3_PKS3_PKT1_SC_S9_PKT3_PKT4_S7_PT5_21rocsparse_index_base_b,"axG",@progbits,_ZN9rocsparseL18bsrxmvn_5x5_kernelILj50E21rocsparse_complex_numIdElldS2_S2_EEvT2_20rocsparse_direction_NS_24const_host_device_scalarIT0_EES3_PKS3_PKT1_SC_S9_PKT3_PKT4_S7_PT5_21rocsparse_index_base_b,comdat
.Lfunc_end35:
	.size	_ZN9rocsparseL18bsrxmvn_5x5_kernelILj50E21rocsparse_complex_numIdElldS2_S2_EEvT2_20rocsparse_direction_NS_24const_host_device_scalarIT0_EES3_PKS3_PKT1_SC_S9_PKT3_PKT4_S7_PT5_21rocsparse_index_base_b, .Lfunc_end35-_ZN9rocsparseL18bsrxmvn_5x5_kernelILj50E21rocsparse_complex_numIdElldS2_S2_EEvT2_20rocsparse_direction_NS_24const_host_device_scalarIT0_EES3_PKS3_PKT1_SC_S9_PKT3_PKT4_S7_PT5_21rocsparse_index_base_b
                                        ; -- End function
	.set _ZN9rocsparseL18bsrxmvn_5x5_kernelILj50E21rocsparse_complex_numIdElldS2_S2_EEvT2_20rocsparse_direction_NS_24const_host_device_scalarIT0_EES3_PKS3_PKT1_SC_S9_PKT3_PKT4_S7_PT5_21rocsparse_index_base_b.num_vgpr, 28
	.set _ZN9rocsparseL18bsrxmvn_5x5_kernelILj50E21rocsparse_complex_numIdElldS2_S2_EEvT2_20rocsparse_direction_NS_24const_host_device_scalarIT0_EES3_PKS3_PKT1_SC_S9_PKT3_PKT4_S7_PT5_21rocsparse_index_base_b.num_agpr, 0
	.set _ZN9rocsparseL18bsrxmvn_5x5_kernelILj50E21rocsparse_complex_numIdElldS2_S2_EEvT2_20rocsparse_direction_NS_24const_host_device_scalarIT0_EES3_PKS3_PKT1_SC_S9_PKT3_PKT4_S7_PT5_21rocsparse_index_base_b.numbered_sgpr, 20
	.set _ZN9rocsparseL18bsrxmvn_5x5_kernelILj50E21rocsparse_complex_numIdElldS2_S2_EEvT2_20rocsparse_direction_NS_24const_host_device_scalarIT0_EES3_PKS3_PKT1_SC_S9_PKT3_PKT4_S7_PT5_21rocsparse_index_base_b.num_named_barrier, 0
	.set _ZN9rocsparseL18bsrxmvn_5x5_kernelILj50E21rocsparse_complex_numIdElldS2_S2_EEvT2_20rocsparse_direction_NS_24const_host_device_scalarIT0_EES3_PKS3_PKT1_SC_S9_PKT3_PKT4_S7_PT5_21rocsparse_index_base_b.private_seg_size, 0
	.set _ZN9rocsparseL18bsrxmvn_5x5_kernelILj50E21rocsparse_complex_numIdElldS2_S2_EEvT2_20rocsparse_direction_NS_24const_host_device_scalarIT0_EES3_PKS3_PKT1_SC_S9_PKT3_PKT4_S7_PT5_21rocsparse_index_base_b.uses_vcc, 1
	.set _ZN9rocsparseL18bsrxmvn_5x5_kernelILj50E21rocsparse_complex_numIdElldS2_S2_EEvT2_20rocsparse_direction_NS_24const_host_device_scalarIT0_EES3_PKS3_PKT1_SC_S9_PKT3_PKT4_S7_PT5_21rocsparse_index_base_b.uses_flat_scratch, 0
	.set _ZN9rocsparseL18bsrxmvn_5x5_kernelILj50E21rocsparse_complex_numIdElldS2_S2_EEvT2_20rocsparse_direction_NS_24const_host_device_scalarIT0_EES3_PKS3_PKT1_SC_S9_PKT3_PKT4_S7_PT5_21rocsparse_index_base_b.has_dyn_sized_stack, 0
	.set _ZN9rocsparseL18bsrxmvn_5x5_kernelILj50E21rocsparse_complex_numIdElldS2_S2_EEvT2_20rocsparse_direction_NS_24const_host_device_scalarIT0_EES3_PKS3_PKT1_SC_S9_PKT3_PKT4_S7_PT5_21rocsparse_index_base_b.has_recursion, 0
	.set _ZN9rocsparseL18bsrxmvn_5x5_kernelILj50E21rocsparse_complex_numIdElldS2_S2_EEvT2_20rocsparse_direction_NS_24const_host_device_scalarIT0_EES3_PKS3_PKT1_SC_S9_PKT3_PKT4_S7_PT5_21rocsparse_index_base_b.has_indirect_call, 0
	.section	.AMDGPU.csdata,"",@progbits
; Kernel info:
; codeLenInByte = 1768
; TotalNumSgprs: 22
; NumVgprs: 28
; ScratchSize: 0
; MemoryBound: 1
; FloatMode: 240
; IeeeMode: 1
; LDSByteSize: 800 bytes/workgroup (compile time only)
; SGPRBlocks: 0
; VGPRBlocks: 3
; NumSGPRsForWavesPerEU: 22
; NumVGPRsForWavesPerEU: 28
; Occupancy: 16
; WaveLimiterHint : 1
; COMPUTE_PGM_RSRC2:SCRATCH_EN: 0
; COMPUTE_PGM_RSRC2:USER_SGPR: 6
; COMPUTE_PGM_RSRC2:TRAP_HANDLER: 0
; COMPUTE_PGM_RSRC2:TGID_X_EN: 1
; COMPUTE_PGM_RSRC2:TGID_Y_EN: 0
; COMPUTE_PGM_RSRC2:TGID_Z_EN: 0
; COMPUTE_PGM_RSRC2:TIDIG_COMP_CNT: 0
	.section	.text._ZN9rocsparseL18bsrxmvn_5x5_kernelILj50EdiifddEEvT2_20rocsparse_direction_NS_24const_host_device_scalarIT0_EES1_PKS1_PKT1_SA_S7_PKT3_PKT4_S5_PT5_21rocsparse_index_base_b,"axG",@progbits,_ZN9rocsparseL18bsrxmvn_5x5_kernelILj50EdiifddEEvT2_20rocsparse_direction_NS_24const_host_device_scalarIT0_EES1_PKS1_PKT1_SA_S7_PKT3_PKT4_S5_PT5_21rocsparse_index_base_b,comdat
	.globl	_ZN9rocsparseL18bsrxmvn_5x5_kernelILj50EdiifddEEvT2_20rocsparse_direction_NS_24const_host_device_scalarIT0_EES1_PKS1_PKT1_SA_S7_PKT3_PKT4_S5_PT5_21rocsparse_index_base_b ; -- Begin function _ZN9rocsparseL18bsrxmvn_5x5_kernelILj50EdiifddEEvT2_20rocsparse_direction_NS_24const_host_device_scalarIT0_EES1_PKS1_PKT1_SA_S7_PKT3_PKT4_S5_PT5_21rocsparse_index_base_b
	.p2align	8
	.type	_ZN9rocsparseL18bsrxmvn_5x5_kernelILj50EdiifddEEvT2_20rocsparse_direction_NS_24const_host_device_scalarIT0_EES1_PKS1_PKT1_SA_S7_PKT3_PKT4_S5_PT5_21rocsparse_index_base_b,@function
_ZN9rocsparseL18bsrxmvn_5x5_kernelILj50EdiifddEEvT2_20rocsparse_direction_NS_24const_host_device_scalarIT0_EES1_PKS1_PKT1_SA_S7_PKT3_PKT4_S5_PT5_21rocsparse_index_base_b: ; @_ZN9rocsparseL18bsrxmvn_5x5_kernelILj50EdiifddEEvT2_20rocsparse_direction_NS_24const_host_device_scalarIT0_EES1_PKS1_PKT1_SA_S7_PKT3_PKT4_S5_PT5_21rocsparse_index_base_b
; %bb.0:
	s_clause 0x2
	s_load_dwordx2 s[10:11], s[4:5], 0x58
	s_load_dwordx2 s[2:3], s[4:5], 0x8
	;; [unrolled: 1-line block ×3, first 2 shown]
	s_waitcnt lgkmcnt(0)
	s_bitcmp1_b32 s11, 0
	v_mov_b32_e32 v4, s3
	v_mov_b32_e32 v3, s2
	s_cselect_b32 s7, -1, 0
	s_and_b32 vcc_lo, exec_lo, s7
	s_xor_b32 s7, s7, -1
	s_cbranch_vccnz .LBB36_2
; %bb.1:
	v_mov_b32_e32 v1, s2
	v_mov_b32_e32 v2, s3
	flat_load_dwordx2 v[3:4], v[1:2]
.LBB36_2:
	v_mov_b32_e32 v2, s1
	v_mov_b32_e32 v1, s0
	s_andn2_b32 vcc_lo, exec_lo, s7
	s_cbranch_vccnz .LBB36_4
; %bb.3:
	v_mov_b32_e32 v2, s1
	v_mov_b32_e32 v1, s0
	flat_load_dwordx2 v[1:2], v[1:2]
.LBB36_4:
	s_waitcnt vmcnt(0) lgkmcnt(0)
	v_cmp_neq_f64_e32 vcc_lo, 0, v[3:4]
	v_cmp_neq_f64_e64 s0, 1.0, v[1:2]
	s_or_b32 s0, vcc_lo, s0
	s_and_saveexec_b32 s1, s0
	s_cbranch_execz .LBB36_37
; %bb.5:
	s_clause 0x1
	s_load_dwordx4 s[0:3], s[4:5], 0x18
	s_load_dwordx2 s[8:9], s[4:5], 0x28
	s_waitcnt lgkmcnt(0)
	s_cmp_eq_u64 s[0:1], 0
	s_cbranch_scc1 .LBB36_7
; %bb.6:
	s_ashr_i32 s7, s6, 31
	s_lshl_b64 s[6:7], s[6:7], 2
	s_add_u32 s0, s0, s6
	s_addc_u32 s1, s1, s7
	s_load_dword s0, s[0:1], 0x0
	s_waitcnt lgkmcnt(0)
	s_sub_i32 s6, s0, s10
.LBB36_7:
	s_load_dword s0, s[4:5], 0x4
	v_mul_u32_u24_e32 v5, 0x3334, v0
	v_lshrrev_b32_e32 v7, 16, v5
	v_mov_b32_e32 v5, 0
	v_mov_b32_e32 v6, 0
	v_mul_lo_u16 v8, v7, 5
	v_sub_nc_u16 v12, v0, v8
	s_waitcnt lgkmcnt(0)
	s_cmp_eq_u32 s0, 1
	s_cselect_b32 vcc_lo, -1, 0
	s_cmp_lg_u32 s0, 1
	s_cselect_b32 s11, -1, 0
	s_ashr_i32 s7, s6, 31
	s_lshl_b64 s[0:1], s[6:7], 2
	s_add_u32 s2, s2, s0
	s_addc_u32 s3, s3, s1
	s_add_u32 s7, s2, 4
	s_addc_u32 s12, s3, 0
	;; [unrolled: 2-line block ×3, first 2 shown]
	s_cmp_eq_u64 s[8:9], 0
	s_cselect_b32 s1, s12, s1
	s_cselect_b32 s0, s7, s0
	s_load_dword s12, s[2:3], 0x0
	s_load_dword s7, s[0:1], 0x0
	s_load_dwordx2 s[8:9], s[4:5], 0x50
	s_waitcnt lgkmcnt(0)
	s_cmp_ge_i32 s12, s7
	s_cbranch_scc1 .LBB36_12
; %bb.8:
	v_mul_lo_u16 v5, v7, 52
	s_clause 0x1
	s_load_dwordx4 s[0:3], s[4:5], 0x30
	s_load_dwordx2 s[4:5], s[4:5], 0x40
	v_and_b32_e32 v9, 0xffff, v12
	s_mul_i32 s13, s10, 25
	s_sub_i32 s7, s7, s10
	v_lshrrev_b16 v5, 8, v5
	v_mul_lo_u16 v5, v5, 5
	v_sub_nc_u16 v5, v7, v5
	v_mad_u64_u32 v[7:8], null, s12, 25, v[0:1]
	v_mov_b32_e32 v8, 0xa3e
	s_sub_i32 s12, s12, s10
	v_and_b32_e32 v10, 0xff, v5
	v_mov_b32_e32 v5, 0
	v_mov_b32_e32 v6, 0
	v_mul_u32_u24_sdwa v13, v0, v8 dst_sel:DWORD dst_unused:UNUSED_PAD src0_sel:WORD_0 src1_sel:DWORD
	v_subrev_nc_u32_e32 v7, s13, v7
	v_cndmask_b32_e32 v9, v9, v10, vcc_lo
	v_mov_b32_e32 v8, 0
	s_inst_prefetch 0x1
	s_branch .LBB36_10
	.p2align	6
.LBB36_9:                               ;   in Loop: Header=BB36_10 Depth=1
	s_or_b32 exec_lo, exec_lo, s13
	v_add_nc_u32_e32 v7, 50, v7
	s_add_i32 s12, s12, 2
	s_cmp_ge_i32 s12, s7
	s_cbranch_scc1 .LBB36_12
.LBB36_10:                              ; =>This Inner Loop Header: Depth=1
	v_add_nc_u32_sdwa v10, v13, s12 dst_sel:DWORD dst_unused:UNUSED_PAD src0_sel:WORD_1 src1_sel:DWORD
	s_mov_b32 s13, exec_lo
	v_cmpx_gt_i32_e64 s7, v10
	s_cbranch_execz .LBB36_9
; %bb.11:                               ;   in Loop: Header=BB36_10 Depth=1
	v_ashrrev_i32_e32 v11, 31, v10
	v_lshlrev_b64 v[10:11], 2, v[10:11]
	s_waitcnt lgkmcnt(0)
	v_add_co_u32 v10, vcc_lo, s0, v10
	v_add_co_ci_u32_e64 v11, null, s1, v11, vcc_lo
	global_load_dword v14, v[10:11], off
	v_lshlrev_b64 v[10:11], 2, v[7:8]
	v_add_co_u32 v10, vcc_lo, s2, v10
	v_add_co_ci_u32_e64 v11, null, s3, v11, vcc_lo
	global_load_dword v16, v[10:11], off
	s_waitcnt vmcnt(1)
	v_subrev_nc_u32_e32 v14, s10, v14
	v_mad_u64_u32 v[14:15], null, v14, 5, v[9:10]
	v_ashrrev_i32_e32 v15, 31, v14
	v_lshlrev_b64 v[10:11], 3, v[14:15]
	s_waitcnt vmcnt(0)
	v_cvt_f64_f32_e32 v[14:15], v16
	v_add_co_u32 v10, vcc_lo, s4, v10
	v_add_co_ci_u32_e64 v11, null, s5, v11, vcc_lo
	global_load_dwordx2 v[10:11], v[10:11], off
	s_waitcnt vmcnt(0)
	v_fma_f64 v[5:6], v[14:15], v[10:11], v[5:6]
	s_branch .LBB36_9
.LBB36_12:
	s_inst_prefetch 0x2
	v_lshlrev_b32_e32 v9, 3, v0
	s_and_b32 vcc_lo, exec_lo, s11
	ds_write_b64 v9, v[5:6]
	s_waitcnt lgkmcnt(0)
	buffer_gl0_inv
	s_cbranch_vccz .LBB36_22
; %bb.13:
	s_mov_b32 s0, exec_lo
	v_cmpx_gt_u32_e32 25, v0
	s_cbranch_execz .LBB36_15
; %bb.14:
	ds_read2_b64 v[13:16], v9 offset1:25
	s_waitcnt lgkmcnt(0)
	v_add_f64 v[7:8], v[15:16], v[13:14]
	ds_write_b64 v9, v[7:8]
.LBB36_15:
	s_or_b32 exec_lo, exec_lo, s0
	s_mov_b32 s0, exec_lo
	s_waitcnt lgkmcnt(0)
	buffer_gl0_inv
	v_cmpx_eq_u16_e32 0, v12
	s_cbranch_execz .LBB36_17
; %bb.16:
	ds_read2_b64 v[13:16], v9 offset1:4
	s_waitcnt lgkmcnt(0)
	v_add_f64 v[7:8], v[15:16], v[13:14]
	ds_write_b64 v9, v[7:8]
.LBB36_17:
	s_or_b32 exec_lo, exec_lo, s0
	s_mov_b32 s0, exec_lo
	s_waitcnt lgkmcnt(0)
	buffer_gl0_inv
	v_cmpx_gt_u16_e32 2, v12
	s_cbranch_execz .LBB36_19
; %bb.18:
	ds_read2_b64 v[10:13], v9 offset1:2
	s_waitcnt lgkmcnt(0)
	v_add_f64 v[7:8], v[12:13], v[10:11]
	ds_write_b64 v9, v[7:8]
.LBB36_19:
	s_or_b32 exec_lo, exec_lo, s0
	v_mov_b32_e32 v8, v6
	v_mov_b32_e32 v7, v5
	s_mov_b32 s0, exec_lo
	s_waitcnt lgkmcnt(0)
	buffer_gl0_inv
	v_cmpx_gt_u32_e32 5, v0
	s_cbranch_execz .LBB36_21
; %bb.20:
	v_lshl_add_u32 v7, v0, 5, v9
	ds_read2_b64 v[10:13], v7 offset1:1
	s_waitcnt lgkmcnt(0)
	v_add_f64 v[7:8], v[10:11], v[12:13]
.LBB36_21:
	s_or_b32 exec_lo, exec_lo, s0
	s_branch .LBB36_32
.LBB36_22:
                                        ; implicit-def: $vgpr7_vgpr8
	s_cbranch_execz .LBB36_32
; %bb.23:
	v_cmp_gt_u32_e32 vcc_lo, 10, v0
	s_and_saveexec_b32 s0, vcc_lo
	s_cbranch_execz .LBB36_25
; %bb.24:
	ds_read2_b64 v[10:13], v9 offset1:40
	s_waitcnt lgkmcnt(0)
	v_add_f64 v[7:8], v[12:13], v[10:11]
	ds_write_b64 v9, v[7:8]
.LBB36_25:
	s_or_b32 exec_lo, exec_lo, s0
	s_mov_b32 s1, exec_lo
	s_waitcnt lgkmcnt(0)
	buffer_gl0_inv
	v_cmpx_gt_u32_e32 20, v0
	s_cbranch_execz .LBB36_27
; %bb.26:
	ds_read2_b64 v[10:13], v9 offset1:20
	s_waitcnt lgkmcnt(0)
	v_add_f64 v[7:8], v[12:13], v[10:11]
	ds_write_b64 v9, v[7:8]
.LBB36_27:
	s_or_b32 exec_lo, exec_lo, s1
	s_waitcnt lgkmcnt(0)
	buffer_gl0_inv
	s_and_saveexec_b32 s0, vcc_lo
	s_cbranch_execz .LBB36_29
; %bb.28:
	ds_read2_b64 v[10:13], v9 offset1:10
	s_waitcnt lgkmcnt(0)
	v_add_f64 v[7:8], v[12:13], v[10:11]
	ds_write_b64 v9, v[7:8]
.LBB36_29:
	s_or_b32 exec_lo, exec_lo, s0
	s_mov_b32 s0, exec_lo
	s_waitcnt lgkmcnt(0)
	buffer_gl0_inv
	v_cmpx_gt_u32_e32 5, v0
	s_cbranch_execz .LBB36_31
; %bb.30:
	ds_read2_b64 v[5:8], v9 offset1:5
	s_waitcnt lgkmcnt(0)
	v_add_f64 v[5:6], v[5:6], v[7:8]
.LBB36_31:
	s_or_b32 exec_lo, exec_lo, s0
	v_mov_b32_e32 v8, v6
	v_mov_b32_e32 v7, v5
.LBB36_32:
	v_cmp_gt_u32_e32 vcc_lo, 5, v0
	s_and_b32 exec_lo, exec_lo, vcc_lo
	s_cbranch_execz .LBB36_37
; %bb.33:
	v_mul_f64 v[3:4], v[3:4], v[7:8]
	s_mov_b32 s0, exec_lo
	v_cmpx_eq_f64_e32 0, v[1:2]
	s_xor_b32 s0, exec_lo, s0
	s_cbranch_execz .LBB36_35
; %bb.34:
	v_mad_u64_u32 v[0:1], null, s6, 5, v[0:1]
	v_mov_b32_e32 v1, 0
	v_lshlrev_b64 v[0:1], 3, v[0:1]
	v_add_co_u32 v0, vcc_lo, s8, v0
	v_add_co_ci_u32_e64 v1, null, s9, v1, vcc_lo
	global_store_dwordx2 v[0:1], v[3:4], off
                                        ; implicit-def: $vgpr0
                                        ; implicit-def: $vgpr1_vgpr2
                                        ; implicit-def: $vgpr3_vgpr4
.LBB36_35:
	s_andn2_saveexec_b32 s0, s0
	s_cbranch_execz .LBB36_37
; %bb.36:
	v_mad_u64_u32 v[5:6], null, s6, 5, v[0:1]
	v_mov_b32_e32 v6, 0
	v_lshlrev_b64 v[5:6], 3, v[5:6]
	v_add_co_u32 v5, vcc_lo, s8, v5
	v_add_co_ci_u32_e64 v6, null, s9, v6, vcc_lo
	global_load_dwordx2 v[7:8], v[5:6], off
	s_waitcnt vmcnt(0)
	v_fma_f64 v[0:1], v[1:2], v[7:8], v[3:4]
	global_store_dwordx2 v[5:6], v[0:1], off
.LBB36_37:
	s_endpgm
	.section	.rodata,"a",@progbits
	.p2align	6, 0x0
	.amdhsa_kernel _ZN9rocsparseL18bsrxmvn_5x5_kernelILj50EdiifddEEvT2_20rocsparse_direction_NS_24const_host_device_scalarIT0_EES1_PKS1_PKT1_SA_S7_PKT3_PKT4_S5_PT5_21rocsparse_index_base_b
		.amdhsa_group_segment_fixed_size 400
		.amdhsa_private_segment_fixed_size 0
		.amdhsa_kernarg_size 96
		.amdhsa_user_sgpr_count 6
		.amdhsa_user_sgpr_private_segment_buffer 1
		.amdhsa_user_sgpr_dispatch_ptr 0
		.amdhsa_user_sgpr_queue_ptr 0
		.amdhsa_user_sgpr_kernarg_segment_ptr 1
		.amdhsa_user_sgpr_dispatch_id 0
		.amdhsa_user_sgpr_flat_scratch_init 0
		.amdhsa_user_sgpr_private_segment_size 0
		.amdhsa_wavefront_size32 1
		.amdhsa_uses_dynamic_stack 0
		.amdhsa_system_sgpr_private_segment_wavefront_offset 0
		.amdhsa_system_sgpr_workgroup_id_x 1
		.amdhsa_system_sgpr_workgroup_id_y 0
		.amdhsa_system_sgpr_workgroup_id_z 0
		.amdhsa_system_sgpr_workgroup_info 0
		.amdhsa_system_vgpr_workitem_id 0
		.amdhsa_next_free_vgpr 17
		.amdhsa_next_free_sgpr 14
		.amdhsa_reserve_vcc 1
		.amdhsa_reserve_flat_scratch 0
		.amdhsa_float_round_mode_32 0
		.amdhsa_float_round_mode_16_64 0
		.amdhsa_float_denorm_mode_32 3
		.amdhsa_float_denorm_mode_16_64 3
		.amdhsa_dx10_clamp 1
		.amdhsa_ieee_mode 1
		.amdhsa_fp16_overflow 0
		.amdhsa_workgroup_processor_mode 1
		.amdhsa_memory_ordered 1
		.amdhsa_forward_progress 1
		.amdhsa_shared_vgpr_count 0
		.amdhsa_exception_fp_ieee_invalid_op 0
		.amdhsa_exception_fp_denorm_src 0
		.amdhsa_exception_fp_ieee_div_zero 0
		.amdhsa_exception_fp_ieee_overflow 0
		.amdhsa_exception_fp_ieee_underflow 0
		.amdhsa_exception_fp_ieee_inexact 0
		.amdhsa_exception_int_div_zero 0
	.end_amdhsa_kernel
	.section	.text._ZN9rocsparseL18bsrxmvn_5x5_kernelILj50EdiifddEEvT2_20rocsparse_direction_NS_24const_host_device_scalarIT0_EES1_PKS1_PKT1_SA_S7_PKT3_PKT4_S5_PT5_21rocsparse_index_base_b,"axG",@progbits,_ZN9rocsparseL18bsrxmvn_5x5_kernelILj50EdiifddEEvT2_20rocsparse_direction_NS_24const_host_device_scalarIT0_EES1_PKS1_PKT1_SA_S7_PKT3_PKT4_S5_PT5_21rocsparse_index_base_b,comdat
.Lfunc_end36:
	.size	_ZN9rocsparseL18bsrxmvn_5x5_kernelILj50EdiifddEEvT2_20rocsparse_direction_NS_24const_host_device_scalarIT0_EES1_PKS1_PKT1_SA_S7_PKT3_PKT4_S5_PT5_21rocsparse_index_base_b, .Lfunc_end36-_ZN9rocsparseL18bsrxmvn_5x5_kernelILj50EdiifddEEvT2_20rocsparse_direction_NS_24const_host_device_scalarIT0_EES1_PKS1_PKT1_SA_S7_PKT3_PKT4_S5_PT5_21rocsparse_index_base_b
                                        ; -- End function
	.set _ZN9rocsparseL18bsrxmvn_5x5_kernelILj50EdiifddEEvT2_20rocsparse_direction_NS_24const_host_device_scalarIT0_EES1_PKS1_PKT1_SA_S7_PKT3_PKT4_S5_PT5_21rocsparse_index_base_b.num_vgpr, 17
	.set _ZN9rocsparseL18bsrxmvn_5x5_kernelILj50EdiifddEEvT2_20rocsparse_direction_NS_24const_host_device_scalarIT0_EES1_PKS1_PKT1_SA_S7_PKT3_PKT4_S5_PT5_21rocsparse_index_base_b.num_agpr, 0
	.set _ZN9rocsparseL18bsrxmvn_5x5_kernelILj50EdiifddEEvT2_20rocsparse_direction_NS_24const_host_device_scalarIT0_EES1_PKS1_PKT1_SA_S7_PKT3_PKT4_S5_PT5_21rocsparse_index_base_b.numbered_sgpr, 14
	.set _ZN9rocsparseL18bsrxmvn_5x5_kernelILj50EdiifddEEvT2_20rocsparse_direction_NS_24const_host_device_scalarIT0_EES1_PKS1_PKT1_SA_S7_PKT3_PKT4_S5_PT5_21rocsparse_index_base_b.num_named_barrier, 0
	.set _ZN9rocsparseL18bsrxmvn_5x5_kernelILj50EdiifddEEvT2_20rocsparse_direction_NS_24const_host_device_scalarIT0_EES1_PKS1_PKT1_SA_S7_PKT3_PKT4_S5_PT5_21rocsparse_index_base_b.private_seg_size, 0
	.set _ZN9rocsparseL18bsrxmvn_5x5_kernelILj50EdiifddEEvT2_20rocsparse_direction_NS_24const_host_device_scalarIT0_EES1_PKS1_PKT1_SA_S7_PKT3_PKT4_S5_PT5_21rocsparse_index_base_b.uses_vcc, 1
	.set _ZN9rocsparseL18bsrxmvn_5x5_kernelILj50EdiifddEEvT2_20rocsparse_direction_NS_24const_host_device_scalarIT0_EES1_PKS1_PKT1_SA_S7_PKT3_PKT4_S5_PT5_21rocsparse_index_base_b.uses_flat_scratch, 0
	.set _ZN9rocsparseL18bsrxmvn_5x5_kernelILj50EdiifddEEvT2_20rocsparse_direction_NS_24const_host_device_scalarIT0_EES1_PKS1_PKT1_SA_S7_PKT3_PKT4_S5_PT5_21rocsparse_index_base_b.has_dyn_sized_stack, 0
	.set _ZN9rocsparseL18bsrxmvn_5x5_kernelILj50EdiifddEEvT2_20rocsparse_direction_NS_24const_host_device_scalarIT0_EES1_PKS1_PKT1_SA_S7_PKT3_PKT4_S5_PT5_21rocsparse_index_base_b.has_recursion, 0
	.set _ZN9rocsparseL18bsrxmvn_5x5_kernelILj50EdiifddEEvT2_20rocsparse_direction_NS_24const_host_device_scalarIT0_EES1_PKS1_PKT1_SA_S7_PKT3_PKT4_S5_PT5_21rocsparse_index_base_b.has_indirect_call, 0
	.section	.AMDGPU.csdata,"",@progbits
; Kernel info:
; codeLenInByte = 1332
; TotalNumSgprs: 16
; NumVgprs: 17
; ScratchSize: 0
; MemoryBound: 0
; FloatMode: 240
; IeeeMode: 1
; LDSByteSize: 400 bytes/workgroup (compile time only)
; SGPRBlocks: 0
; VGPRBlocks: 2
; NumSGPRsForWavesPerEU: 16
; NumVGPRsForWavesPerEU: 17
; Occupancy: 16
; WaveLimiterHint : 1
; COMPUTE_PGM_RSRC2:SCRATCH_EN: 0
; COMPUTE_PGM_RSRC2:USER_SGPR: 6
; COMPUTE_PGM_RSRC2:TRAP_HANDLER: 0
; COMPUTE_PGM_RSRC2:TGID_X_EN: 1
; COMPUTE_PGM_RSRC2:TGID_Y_EN: 0
; COMPUTE_PGM_RSRC2:TGID_Z_EN: 0
; COMPUTE_PGM_RSRC2:TIDIG_COMP_CNT: 0
	.section	.text._ZN9rocsparseL18bsrxmvn_5x5_kernelILj50EdlifddEEvT2_20rocsparse_direction_NS_24const_host_device_scalarIT0_EES1_PKS1_PKT1_SA_S7_PKT3_PKT4_S5_PT5_21rocsparse_index_base_b,"axG",@progbits,_ZN9rocsparseL18bsrxmvn_5x5_kernelILj50EdlifddEEvT2_20rocsparse_direction_NS_24const_host_device_scalarIT0_EES1_PKS1_PKT1_SA_S7_PKT3_PKT4_S5_PT5_21rocsparse_index_base_b,comdat
	.globl	_ZN9rocsparseL18bsrxmvn_5x5_kernelILj50EdlifddEEvT2_20rocsparse_direction_NS_24const_host_device_scalarIT0_EES1_PKS1_PKT1_SA_S7_PKT3_PKT4_S5_PT5_21rocsparse_index_base_b ; -- Begin function _ZN9rocsparseL18bsrxmvn_5x5_kernelILj50EdlifddEEvT2_20rocsparse_direction_NS_24const_host_device_scalarIT0_EES1_PKS1_PKT1_SA_S7_PKT3_PKT4_S5_PT5_21rocsparse_index_base_b
	.p2align	8
	.type	_ZN9rocsparseL18bsrxmvn_5x5_kernelILj50EdlifddEEvT2_20rocsparse_direction_NS_24const_host_device_scalarIT0_EES1_PKS1_PKT1_SA_S7_PKT3_PKT4_S5_PT5_21rocsparse_index_base_b,@function
_ZN9rocsparseL18bsrxmvn_5x5_kernelILj50EdlifddEEvT2_20rocsparse_direction_NS_24const_host_device_scalarIT0_EES1_PKS1_PKT1_SA_S7_PKT3_PKT4_S5_PT5_21rocsparse_index_base_b: ; @_ZN9rocsparseL18bsrxmvn_5x5_kernelILj50EdlifddEEvT2_20rocsparse_direction_NS_24const_host_device_scalarIT0_EES1_PKS1_PKT1_SA_S7_PKT3_PKT4_S5_PT5_21rocsparse_index_base_b
; %bb.0:
	s_clause 0x2
	s_load_dwordx2 s[8:9], s[4:5], 0x58
	s_load_dwordx2 s[2:3], s[4:5], 0x8
	;; [unrolled: 1-line block ×3, first 2 shown]
	s_waitcnt lgkmcnt(0)
	s_bitcmp1_b32 s9, 0
	v_mov_b32_e32 v4, s3
	v_mov_b32_e32 v3, s2
	s_cselect_b32 s7, -1, 0
	s_and_b32 vcc_lo, exec_lo, s7
	s_xor_b32 s7, s7, -1
	s_cbranch_vccnz .LBB37_2
; %bb.1:
	v_mov_b32_e32 v1, s2
	v_mov_b32_e32 v2, s3
	flat_load_dwordx2 v[3:4], v[1:2]
.LBB37_2:
	v_mov_b32_e32 v2, s1
	v_mov_b32_e32 v1, s0
	s_andn2_b32 vcc_lo, exec_lo, s7
	s_cbranch_vccnz .LBB37_4
; %bb.3:
	v_mov_b32_e32 v2, s1
	v_mov_b32_e32 v1, s0
	flat_load_dwordx2 v[1:2], v[1:2]
.LBB37_4:
	s_waitcnt vmcnt(0) lgkmcnt(0)
	v_cmp_neq_f64_e32 vcc_lo, 0, v[3:4]
	v_cmp_neq_f64_e64 s0, 1.0, v[1:2]
	s_or_b32 s0, vcc_lo, s0
	s_and_saveexec_b32 s1, s0
	s_cbranch_execz .LBB37_37
; %bb.5:
	s_clause 0x1
	s_load_dwordx4 s[0:3], s[4:5], 0x18
	s_load_dwordx2 s[10:11], s[4:5], 0x28
	s_waitcnt lgkmcnt(0)
	s_cmp_eq_u64 s[0:1], 0
	s_cbranch_scc1 .LBB37_7
; %bb.6:
	s_ashr_i32 s7, s6, 31
	s_lshl_b64 s[6:7], s[6:7], 2
	s_add_u32 s0, s0, s6
	s_addc_u32 s1, s1, s7
	s_load_dword s0, s[0:1], 0x0
	s_waitcnt lgkmcnt(0)
	s_sub_i32 s6, s0, s8
.LBB37_7:
	s_load_dword s1, s[4:5], 0x4
	v_mul_u32_u24_e32 v5, 0x3334, v0
	v_lshrrev_b32_e32 v7, 16, v5
	v_mul_lo_u16 v5, v7, 5
	v_sub_nc_u16 v12, v0, v5
	v_mov_b32_e32 v5, 0
	v_mov_b32_e32 v6, 0
	s_waitcnt lgkmcnt(0)
	s_cmp_eq_u32 s1, 1
	s_cselect_b32 s0, -1, 0
	s_cmp_lg_u32 s1, 1
	s_cselect_b32 s9, -1, 0
	s_ashr_i32 s7, s6, 31
	s_lshl_b64 s[12:13], s[6:7], 3
	s_add_u32 s2, s2, s12
	s_addc_u32 s3, s3, s13
	s_add_u32 s1, s2, 8
	s_addc_u32 s7, s3, 0
	s_add_u32 s12, s10, s12
	s_addc_u32 s13, s11, s13
	s_cmp_eq_u64 s[10:11], 0
	s_cselect_b32 s11, s7, s13
	s_cselect_b32 s10, s1, s12
	s_load_dwordx2 s[12:13], s[2:3], 0x0
	s_load_dwordx2 s[10:11], s[10:11], 0x0
	s_load_dwordx2 s[2:3], s[4:5], 0x50
	s_waitcnt lgkmcnt(0)
	v_cmp_ge_i64_e64 s1, s[12:13], s[10:11]
	s_and_b32 vcc_lo, exec_lo, s1
	s_cbranch_vccnz .LBB37_12
; %bb.8:
	v_mul_lo_u16 v5, v7, 52
	v_mov_b32_e32 v8, 0xa3e
	v_mov_b32_e32 v6, 0
	s_clause 0x1
	s_load_dwordx4 s[16:19], s[4:5], 0x30
	s_load_dwordx2 s[4:5], s[4:5], 0x40
	v_and_b32_e32 v10, 0xffff, v12
	v_lshrrev_b16 v9, 8, v5
	v_mul_u32_u24_sdwa v8, v0, v8 dst_sel:DWORD dst_unused:UNUSED_PAD src0_sel:WORD_0 src1_sel:DWORD
	v_lshlrev_b32_e32 v5, 2, v0
	s_mul_i32 s7, s8, 0x64
	s_mul_hi_u32 s1, s8, 0x64
	v_mul_lo_u16 v9, v9, 5
	v_lshrrev_b32_e32 v13, 16, v8
	v_mad_u64_u32 v[5:6], null, 0x64, s12, v[5:6]
	s_sub_u32 s10, s10, s8
	v_sub_nc_u16 v7, v7, v9
	v_add_co_u32 v9, s14, s12, v13
	v_add_co_ci_u32_e64 v11, null, s13, 0, s14
	v_and_b32_e32 v8, 0xff, v7
	v_mad_u64_u32 v[6:7], null, 0x64, s13, v[6:7]
	s_subb_u32 s11, s11, 0
	v_cndmask_b32_e64 v7, v10, v8, s0
	v_sub_co_u32 v8, vcc_lo, v9, s8
	v_subrev_co_ci_u32_e64 v9, null, 0, v11, vcc_lo
	v_sub_co_u32 v5, vcc_lo, v5, s7
	v_subrev_co_ci_u32_e64 v6, null, s1, v6, vcc_lo
	v_lshlrev_b64 v[10:11], 2, v[8:9]
	s_waitcnt lgkmcnt(0)
	v_add_co_u32 v8, vcc_lo, s18, v5
	v_add_co_ci_u32_e64 v9, null, s19, v6, vcc_lo
	v_mov_b32_e32 v5, 0
	v_add_co_u32 v10, vcc_lo, s16, v10
	v_mov_b32_e32 v6, 0
	v_add_co_ci_u32_e64 v11, null, s17, v11, vcc_lo
	s_sub_u32 s0, s12, s8
	s_subb_u32 s1, s13, 0
	s_inst_prefetch 0x1
	s_branch .LBB37_10
	.p2align	6
.LBB37_9:                               ;   in Loop: Header=BB37_10 Depth=1
	s_or_b32 exec_lo, exec_lo, s7
	s_add_u32 s0, s0, 2
	s_addc_u32 s1, s1, 0
	v_add_co_u32 v8, vcc_lo, 0xc8, v8
	v_cmp_ge_i64_e64 s7, s[0:1], s[10:11]
	v_add_co_ci_u32_e64 v9, null, 0, v9, vcc_lo
	v_add_co_u32 v10, vcc_lo, v10, 8
	v_add_co_ci_u32_e64 v11, null, 0, v11, vcc_lo
	s_and_b32 vcc_lo, exec_lo, s7
	s_cbranch_vccnz .LBB37_12
.LBB37_10:                              ; =>This Inner Loop Header: Depth=1
	v_add_co_u32 v14, s7, v13, s0
	v_add_co_ci_u32_e64 v15, null, 0, s1, s7
	s_mov_b32 s7, exec_lo
	v_cmpx_gt_i64_e64 s[10:11], v[14:15]
	s_cbranch_execz .LBB37_9
; %bb.11:                               ;   in Loop: Header=BB37_10 Depth=1
	global_load_dword v14, v[10:11], off
	global_load_dword v16, v[8:9], off
	s_waitcnt vmcnt(1)
	v_subrev_nc_u32_e32 v14, s8, v14
	s_waitcnt vmcnt(0)
	v_cvt_f64_f32_e32 v[16:17], v16
	v_mad_u64_u32 v[14:15], null, v14, 5, v[7:8]
	v_ashrrev_i32_e32 v15, 31, v14
	v_lshlrev_b64 v[14:15], 3, v[14:15]
	v_add_co_u32 v14, vcc_lo, s4, v14
	v_add_co_ci_u32_e64 v15, null, s5, v15, vcc_lo
	global_load_dwordx2 v[14:15], v[14:15], off
	s_waitcnt vmcnt(0)
	v_fma_f64 v[5:6], v[16:17], v[14:15], v[5:6]
	s_branch .LBB37_9
.LBB37_12:
	s_inst_prefetch 0x2
	v_lshlrev_b32_e32 v9, 3, v0
	s_and_b32 vcc_lo, exec_lo, s9
	ds_write_b64 v9, v[5:6]
	s_waitcnt lgkmcnt(0)
	buffer_gl0_inv
	s_cbranch_vccz .LBB37_22
; %bb.13:
	s_mov_b32 s0, exec_lo
	v_cmpx_gt_u32_e32 25, v0
	s_cbranch_execz .LBB37_15
; %bb.14:
	ds_read2_b64 v[13:16], v9 offset1:25
	s_waitcnt lgkmcnt(0)
	v_add_f64 v[7:8], v[15:16], v[13:14]
	ds_write_b64 v9, v[7:8]
.LBB37_15:
	s_or_b32 exec_lo, exec_lo, s0
	s_mov_b32 s0, exec_lo
	s_waitcnt lgkmcnt(0)
	buffer_gl0_inv
	v_cmpx_eq_u16_e32 0, v12
	s_cbranch_execz .LBB37_17
; %bb.16:
	ds_read2_b64 v[13:16], v9 offset1:4
	s_waitcnt lgkmcnt(0)
	v_add_f64 v[7:8], v[15:16], v[13:14]
	ds_write_b64 v9, v[7:8]
.LBB37_17:
	s_or_b32 exec_lo, exec_lo, s0
	s_mov_b32 s0, exec_lo
	s_waitcnt lgkmcnt(0)
	buffer_gl0_inv
	v_cmpx_gt_u16_e32 2, v12
	s_cbranch_execz .LBB37_19
; %bb.18:
	ds_read2_b64 v[10:13], v9 offset1:2
	s_waitcnt lgkmcnt(0)
	v_add_f64 v[7:8], v[12:13], v[10:11]
	ds_write_b64 v9, v[7:8]
.LBB37_19:
	s_or_b32 exec_lo, exec_lo, s0
	v_mov_b32_e32 v8, v6
	v_mov_b32_e32 v7, v5
	s_mov_b32 s0, exec_lo
	s_waitcnt lgkmcnt(0)
	buffer_gl0_inv
	v_cmpx_gt_u32_e32 5, v0
	s_cbranch_execz .LBB37_21
; %bb.20:
	v_lshl_add_u32 v7, v0, 5, v9
	ds_read2_b64 v[10:13], v7 offset1:1
	s_waitcnt lgkmcnt(0)
	v_add_f64 v[7:8], v[10:11], v[12:13]
.LBB37_21:
	s_or_b32 exec_lo, exec_lo, s0
	s_branch .LBB37_32
.LBB37_22:
                                        ; implicit-def: $vgpr7_vgpr8
	s_cbranch_execz .LBB37_32
; %bb.23:
	v_cmp_gt_u32_e32 vcc_lo, 10, v0
	s_and_saveexec_b32 s0, vcc_lo
	s_cbranch_execz .LBB37_25
; %bb.24:
	ds_read2_b64 v[10:13], v9 offset1:40
	s_waitcnt lgkmcnt(0)
	v_add_f64 v[7:8], v[12:13], v[10:11]
	ds_write_b64 v9, v[7:8]
.LBB37_25:
	s_or_b32 exec_lo, exec_lo, s0
	s_mov_b32 s1, exec_lo
	s_waitcnt lgkmcnt(0)
	buffer_gl0_inv
	v_cmpx_gt_u32_e32 20, v0
	s_cbranch_execz .LBB37_27
; %bb.26:
	ds_read2_b64 v[10:13], v9 offset1:20
	s_waitcnt lgkmcnt(0)
	v_add_f64 v[7:8], v[12:13], v[10:11]
	ds_write_b64 v9, v[7:8]
.LBB37_27:
	s_or_b32 exec_lo, exec_lo, s1
	s_waitcnt lgkmcnt(0)
	buffer_gl0_inv
	s_and_saveexec_b32 s0, vcc_lo
	s_cbranch_execz .LBB37_29
; %bb.28:
	ds_read2_b64 v[10:13], v9 offset1:10
	s_waitcnt lgkmcnt(0)
	v_add_f64 v[7:8], v[12:13], v[10:11]
	ds_write_b64 v9, v[7:8]
.LBB37_29:
	s_or_b32 exec_lo, exec_lo, s0
	s_mov_b32 s0, exec_lo
	s_waitcnt lgkmcnt(0)
	buffer_gl0_inv
	v_cmpx_gt_u32_e32 5, v0
	s_cbranch_execz .LBB37_31
; %bb.30:
	ds_read2_b64 v[5:8], v9 offset1:5
	s_waitcnt lgkmcnt(0)
	v_add_f64 v[5:6], v[5:6], v[7:8]
.LBB37_31:
	s_or_b32 exec_lo, exec_lo, s0
	v_mov_b32_e32 v8, v6
	v_mov_b32_e32 v7, v5
.LBB37_32:
	v_cmp_gt_u32_e32 vcc_lo, 5, v0
	s_and_b32 exec_lo, exec_lo, vcc_lo
	s_cbranch_execz .LBB37_37
; %bb.33:
	v_mul_f64 v[3:4], v[3:4], v[7:8]
	s_mov_b32 s0, exec_lo
	v_cmpx_eq_f64_e32 0, v[1:2]
	s_xor_b32 s0, exec_lo, s0
	s_cbranch_execz .LBB37_35
; %bb.34:
	v_mad_u64_u32 v[0:1], null, s6, 5, v[0:1]
	v_mov_b32_e32 v1, 0
	v_lshlrev_b64 v[0:1], 3, v[0:1]
	v_add_co_u32 v0, vcc_lo, s2, v0
	v_add_co_ci_u32_e64 v1, null, s3, v1, vcc_lo
	global_store_dwordx2 v[0:1], v[3:4], off
                                        ; implicit-def: $vgpr0
                                        ; implicit-def: $vgpr1_vgpr2
                                        ; implicit-def: $vgpr3_vgpr4
.LBB37_35:
	s_andn2_saveexec_b32 s0, s0
	s_cbranch_execz .LBB37_37
; %bb.36:
	v_mad_u64_u32 v[5:6], null, s6, 5, v[0:1]
	v_mov_b32_e32 v6, 0
	v_lshlrev_b64 v[5:6], 3, v[5:6]
	v_add_co_u32 v5, vcc_lo, s2, v5
	v_add_co_ci_u32_e64 v6, null, s3, v6, vcc_lo
	global_load_dwordx2 v[7:8], v[5:6], off
	s_waitcnt vmcnt(0)
	v_fma_f64 v[0:1], v[1:2], v[7:8], v[3:4]
	global_store_dwordx2 v[5:6], v[0:1], off
.LBB37_37:
	s_endpgm
	.section	.rodata,"a",@progbits
	.p2align	6, 0x0
	.amdhsa_kernel _ZN9rocsparseL18bsrxmvn_5x5_kernelILj50EdlifddEEvT2_20rocsparse_direction_NS_24const_host_device_scalarIT0_EES1_PKS1_PKT1_SA_S7_PKT3_PKT4_S5_PT5_21rocsparse_index_base_b
		.amdhsa_group_segment_fixed_size 400
		.amdhsa_private_segment_fixed_size 0
		.amdhsa_kernarg_size 96
		.amdhsa_user_sgpr_count 6
		.amdhsa_user_sgpr_private_segment_buffer 1
		.amdhsa_user_sgpr_dispatch_ptr 0
		.amdhsa_user_sgpr_queue_ptr 0
		.amdhsa_user_sgpr_kernarg_segment_ptr 1
		.amdhsa_user_sgpr_dispatch_id 0
		.amdhsa_user_sgpr_flat_scratch_init 0
		.amdhsa_user_sgpr_private_segment_size 0
		.amdhsa_wavefront_size32 1
		.amdhsa_uses_dynamic_stack 0
		.amdhsa_system_sgpr_private_segment_wavefront_offset 0
		.amdhsa_system_sgpr_workgroup_id_x 1
		.amdhsa_system_sgpr_workgroup_id_y 0
		.amdhsa_system_sgpr_workgroup_id_z 0
		.amdhsa_system_sgpr_workgroup_info 0
		.amdhsa_system_vgpr_workitem_id 0
		.amdhsa_next_free_vgpr 18
		.amdhsa_next_free_sgpr 20
		.amdhsa_reserve_vcc 1
		.amdhsa_reserve_flat_scratch 0
		.amdhsa_float_round_mode_32 0
		.amdhsa_float_round_mode_16_64 0
		.amdhsa_float_denorm_mode_32 3
		.amdhsa_float_denorm_mode_16_64 3
		.amdhsa_dx10_clamp 1
		.amdhsa_ieee_mode 1
		.amdhsa_fp16_overflow 0
		.amdhsa_workgroup_processor_mode 1
		.amdhsa_memory_ordered 1
		.amdhsa_forward_progress 1
		.amdhsa_shared_vgpr_count 0
		.amdhsa_exception_fp_ieee_invalid_op 0
		.amdhsa_exception_fp_denorm_src 0
		.amdhsa_exception_fp_ieee_div_zero 0
		.amdhsa_exception_fp_ieee_overflow 0
		.amdhsa_exception_fp_ieee_underflow 0
		.amdhsa_exception_fp_ieee_inexact 0
		.amdhsa_exception_int_div_zero 0
	.end_amdhsa_kernel
	.section	.text._ZN9rocsparseL18bsrxmvn_5x5_kernelILj50EdlifddEEvT2_20rocsparse_direction_NS_24const_host_device_scalarIT0_EES1_PKS1_PKT1_SA_S7_PKT3_PKT4_S5_PT5_21rocsparse_index_base_b,"axG",@progbits,_ZN9rocsparseL18bsrxmvn_5x5_kernelILj50EdlifddEEvT2_20rocsparse_direction_NS_24const_host_device_scalarIT0_EES1_PKS1_PKT1_SA_S7_PKT3_PKT4_S5_PT5_21rocsparse_index_base_b,comdat
.Lfunc_end37:
	.size	_ZN9rocsparseL18bsrxmvn_5x5_kernelILj50EdlifddEEvT2_20rocsparse_direction_NS_24const_host_device_scalarIT0_EES1_PKS1_PKT1_SA_S7_PKT3_PKT4_S5_PT5_21rocsparse_index_base_b, .Lfunc_end37-_ZN9rocsparseL18bsrxmvn_5x5_kernelILj50EdlifddEEvT2_20rocsparse_direction_NS_24const_host_device_scalarIT0_EES1_PKS1_PKT1_SA_S7_PKT3_PKT4_S5_PT5_21rocsparse_index_base_b
                                        ; -- End function
	.set _ZN9rocsparseL18bsrxmvn_5x5_kernelILj50EdlifddEEvT2_20rocsparse_direction_NS_24const_host_device_scalarIT0_EES1_PKS1_PKT1_SA_S7_PKT3_PKT4_S5_PT5_21rocsparse_index_base_b.num_vgpr, 18
	.set _ZN9rocsparseL18bsrxmvn_5x5_kernelILj50EdlifddEEvT2_20rocsparse_direction_NS_24const_host_device_scalarIT0_EES1_PKS1_PKT1_SA_S7_PKT3_PKT4_S5_PT5_21rocsparse_index_base_b.num_agpr, 0
	.set _ZN9rocsparseL18bsrxmvn_5x5_kernelILj50EdlifddEEvT2_20rocsparse_direction_NS_24const_host_device_scalarIT0_EES1_PKS1_PKT1_SA_S7_PKT3_PKT4_S5_PT5_21rocsparse_index_base_b.numbered_sgpr, 20
	.set _ZN9rocsparseL18bsrxmvn_5x5_kernelILj50EdlifddEEvT2_20rocsparse_direction_NS_24const_host_device_scalarIT0_EES1_PKS1_PKT1_SA_S7_PKT3_PKT4_S5_PT5_21rocsparse_index_base_b.num_named_barrier, 0
	.set _ZN9rocsparseL18bsrxmvn_5x5_kernelILj50EdlifddEEvT2_20rocsparse_direction_NS_24const_host_device_scalarIT0_EES1_PKS1_PKT1_SA_S7_PKT3_PKT4_S5_PT5_21rocsparse_index_base_b.private_seg_size, 0
	.set _ZN9rocsparseL18bsrxmvn_5x5_kernelILj50EdlifddEEvT2_20rocsparse_direction_NS_24const_host_device_scalarIT0_EES1_PKS1_PKT1_SA_S7_PKT3_PKT4_S5_PT5_21rocsparse_index_base_b.uses_vcc, 1
	.set _ZN9rocsparseL18bsrxmvn_5x5_kernelILj50EdlifddEEvT2_20rocsparse_direction_NS_24const_host_device_scalarIT0_EES1_PKS1_PKT1_SA_S7_PKT3_PKT4_S5_PT5_21rocsparse_index_base_b.uses_flat_scratch, 0
	.set _ZN9rocsparseL18bsrxmvn_5x5_kernelILj50EdlifddEEvT2_20rocsparse_direction_NS_24const_host_device_scalarIT0_EES1_PKS1_PKT1_SA_S7_PKT3_PKT4_S5_PT5_21rocsparse_index_base_b.has_dyn_sized_stack, 0
	.set _ZN9rocsparseL18bsrxmvn_5x5_kernelILj50EdlifddEEvT2_20rocsparse_direction_NS_24const_host_device_scalarIT0_EES1_PKS1_PKT1_SA_S7_PKT3_PKT4_S5_PT5_21rocsparse_index_base_b.has_recursion, 0
	.set _ZN9rocsparseL18bsrxmvn_5x5_kernelILj50EdlifddEEvT2_20rocsparse_direction_NS_24const_host_device_scalarIT0_EES1_PKS1_PKT1_SA_S7_PKT3_PKT4_S5_PT5_21rocsparse_index_base_b.has_indirect_call, 0
	.section	.AMDGPU.csdata,"",@progbits
; Kernel info:
; codeLenInByte = 1456
; TotalNumSgprs: 22
; NumVgprs: 18
; ScratchSize: 0
; MemoryBound: 0
; FloatMode: 240
; IeeeMode: 1
; LDSByteSize: 400 bytes/workgroup (compile time only)
; SGPRBlocks: 0
; VGPRBlocks: 2
; NumSGPRsForWavesPerEU: 22
; NumVGPRsForWavesPerEU: 18
; Occupancy: 16
; WaveLimiterHint : 1
; COMPUTE_PGM_RSRC2:SCRATCH_EN: 0
; COMPUTE_PGM_RSRC2:USER_SGPR: 6
; COMPUTE_PGM_RSRC2:TRAP_HANDLER: 0
; COMPUTE_PGM_RSRC2:TGID_X_EN: 1
; COMPUTE_PGM_RSRC2:TGID_Y_EN: 0
; COMPUTE_PGM_RSRC2:TGID_Z_EN: 0
; COMPUTE_PGM_RSRC2:TIDIG_COMP_CNT: 0
	.section	.text._ZN9rocsparseL18bsrxmvn_5x5_kernelILj50EdllfddEEvT2_20rocsparse_direction_NS_24const_host_device_scalarIT0_EES1_PKS1_PKT1_SA_S7_PKT3_PKT4_S5_PT5_21rocsparse_index_base_b,"axG",@progbits,_ZN9rocsparseL18bsrxmvn_5x5_kernelILj50EdllfddEEvT2_20rocsparse_direction_NS_24const_host_device_scalarIT0_EES1_PKS1_PKT1_SA_S7_PKT3_PKT4_S5_PT5_21rocsparse_index_base_b,comdat
	.globl	_ZN9rocsparseL18bsrxmvn_5x5_kernelILj50EdllfddEEvT2_20rocsparse_direction_NS_24const_host_device_scalarIT0_EES1_PKS1_PKT1_SA_S7_PKT3_PKT4_S5_PT5_21rocsparse_index_base_b ; -- Begin function _ZN9rocsparseL18bsrxmvn_5x5_kernelILj50EdllfddEEvT2_20rocsparse_direction_NS_24const_host_device_scalarIT0_EES1_PKS1_PKT1_SA_S7_PKT3_PKT4_S5_PT5_21rocsparse_index_base_b
	.p2align	8
	.type	_ZN9rocsparseL18bsrxmvn_5x5_kernelILj50EdllfddEEvT2_20rocsparse_direction_NS_24const_host_device_scalarIT0_EES1_PKS1_PKT1_SA_S7_PKT3_PKT4_S5_PT5_21rocsparse_index_base_b,@function
_ZN9rocsparseL18bsrxmvn_5x5_kernelILj50EdllfddEEvT2_20rocsparse_direction_NS_24const_host_device_scalarIT0_EES1_PKS1_PKT1_SA_S7_PKT3_PKT4_S5_PT5_21rocsparse_index_base_b: ; @_ZN9rocsparseL18bsrxmvn_5x5_kernelILj50EdllfddEEvT2_20rocsparse_direction_NS_24const_host_device_scalarIT0_EES1_PKS1_PKT1_SA_S7_PKT3_PKT4_S5_PT5_21rocsparse_index_base_b
; %bb.0:
	s_clause 0x2
	s_load_dwordx2 s[12:13], s[4:5], 0x60
	s_load_dwordx2 s[2:3], s[4:5], 0x10
	;; [unrolled: 1-line block ×3, first 2 shown]
	s_waitcnt lgkmcnt(0)
	s_bitcmp1_b32 s13, 0
	v_mov_b32_e32 v5, s3
	v_mov_b32_e32 v4, s2
	s_cselect_b32 s7, -1, 0
	s_and_b32 vcc_lo, exec_lo, s7
	s_xor_b32 s7, s7, -1
	s_cbranch_vccnz .LBB38_2
; %bb.1:
	v_mov_b32_e32 v1, s2
	v_mov_b32_e32 v2, s3
	flat_load_dwordx2 v[4:5], v[1:2]
.LBB38_2:
	v_mov_b32_e32 v3, s1
	v_mov_b32_e32 v2, s0
	s_andn2_b32 vcc_lo, exec_lo, s7
	s_cbranch_vccnz .LBB38_4
; %bb.3:
	v_mov_b32_e32 v2, s1
	v_mov_b32_e32 v1, s0
	flat_load_dwordx2 v[2:3], v[1:2]
.LBB38_4:
	s_waitcnt vmcnt(0) lgkmcnt(0)
	v_cmp_neq_f64_e32 vcc_lo, 0, v[4:5]
	v_cmp_neq_f64_e64 s0, 1.0, v[2:3]
	s_or_b32 s0, vcc_lo, s0
	s_and_saveexec_b32 s1, s0
	s_cbranch_execz .LBB38_40
; %bb.5:
	s_clause 0x1
	s_load_dwordx4 s[0:3], s[4:5], 0x20
	s_load_dwordx2 s[8:9], s[4:5], 0x30
	s_mov_b32 s7, 0
	s_waitcnt lgkmcnt(0)
	s_cmp_eq_u64 s[0:1], 0
	s_cbranch_scc1 .LBB38_7
; %bb.6:
	s_lshl_b64 s[6:7], s[6:7], 3
	s_add_u32 s0, s0, s6
	s_addc_u32 s1, s1, s7
	s_load_dwordx2 s[0:1], s[0:1], 0x0
	s_waitcnt lgkmcnt(0)
	s_sub_u32 s6, s0, s12
	s_subb_u32 s7, s1, 0
.LBB38_7:
	s_load_dword s1, s[4:5], 0x8
	v_mul_u32_u24_e32 v1, 0x3334, v0
	v_lshrrev_b32_e32 v8, 16, v1
	v_mul_lo_u16 v9, v8, 5
	s_waitcnt lgkmcnt(0)
	s_cmp_eq_u32 s1, 1
	s_cselect_b32 s0, -1, 0
	s_cmp_lg_u32 s1, 1
	s_cselect_b32 s13, -1, 0
	s_lshl_b64 s[10:11], s[6:7], 3
	s_add_u32 s2, s2, s10
	s_addc_u32 s3, s3, s11
	s_add_u32 s1, s2, 8
	s_addc_u32 s14, s3, 0
	;; [unrolled: 2-line block ×3, first 2 shown]
	s_cmp_eq_u64 s[8:9], 0
	s_cselect_b32 s9, s14, s11
	s_cselect_b32 s8, s1, s10
	s_load_dwordx2 s[14:15], s[2:3], 0x0
	s_load_dwordx2 s[16:17], s[8:9], 0x0
	s_waitcnt lgkmcnt(0)
	v_cmp_lt_i64_e64 s1, s[14:15], s[16:17]
	s_and_b32 vcc_lo, exec_lo, s1
	s_cbranch_vccnz .LBB38_9
; %bb.8:
	v_mov_b32_e32 v1, 0
	s_mov_b32 s1, 0
	s_branch .LBB38_10
.LBB38_9:
	s_mov_b32 s1, -1
.LBB38_10:
	s_load_dwordx2 s[2:3], s[4:5], 0x58
	v_mov_b32_e32 v6, 0
	v_mov_b32_e32 v7, 0
	v_sub_nc_u16 v14, v0, v9
	s_andn2_b32 vcc_lo, exec_lo, s1
	s_cbranch_vccnz .LBB38_15
; %bb.11:
	v_mul_lo_u16 v1, v8, 52
	v_mov_b32_e32 v6, 0xa3e
	s_clause 0x1
	s_load_dwordx4 s[8:11], s[4:5], 0x38
	s_load_dwordx2 s[18:19], s[4:5], 0x48
	v_and_b32_e32 v9, 0xffff, v14
	s_mul_i32 s5, s12, 0x64
	v_lshrrev_b16 v1, 8, v1
	v_mul_u32_u24_sdwa v10, v0, v6 dst_sel:DWORD dst_unused:UNUSED_PAD src0_sel:WORD_0 src1_sel:DWORD
	v_lshlrev_b32_e32 v6, 2, v0
	s_mul_hi_u32 s1, s12, 0x64
	s_sub_u32 s4, s16, s12
	v_mul_lo_u16 v7, v1, 5
	v_mov_b32_e32 v1, 0
	v_lshrrev_b32_e32 v15, 16, v10
	v_sub_nc_u16 v8, v8, v7
	v_mov_b32_e32 v7, v1
	v_and_b32_e32 v8, 0xff, v8
	v_mad_u64_u32 v[6:7], null, 0x64, s14, v[6:7]
	v_cndmask_b32_e64 v8, v9, v8, s0
	v_add_co_u32 v9, s0, s14, v15
	v_add_co_ci_u32_e64 v11, null, s15, 0, s0
	v_lshlrev_b32_e32 v12, 3, v8
	v_sub_co_u32 v10, vcc_lo, v9, s12
	v_mad_u64_u32 v[7:8], null, 0x64, s15, v[7:8]
	v_subrev_co_ci_u32_e64 v11, null, 0, v11, vcc_lo
	v_sub_co_u32 v6, vcc_lo, v6, s5
	s_waitcnt lgkmcnt(0)
	v_add_co_u32 v8, s0, s18, v12
	v_lshlrev_b64 v[12:13], 3, v[10:11]
	v_subrev_co_ci_u32_e64 v7, null, s1, v7, vcc_lo
	v_add_co_u32 v10, vcc_lo, s10, v6
	v_add_co_ci_u32_e64 v9, null, s19, 0, s0
	v_add_co_ci_u32_e64 v11, null, s11, v7, vcc_lo
	v_add_co_u32 v12, vcc_lo, s8, v12
	v_mov_b32_e32 v6, 0
	v_mov_b32_e32 v7, 0
	v_add_co_ci_u32_e64 v13, null, s9, v13, vcc_lo
	s_subb_u32 s5, s17, 0
	s_sub_u32 s0, s14, s12
	s_subb_u32 s1, s15, 0
	s_inst_prefetch 0x1
	s_branch .LBB38_13
	.p2align	6
.LBB38_12:                              ;   in Loop: Header=BB38_13 Depth=1
	s_or_b32 exec_lo, exec_lo, s8
	s_add_u32 s0, s0, 2
	s_addc_u32 s1, s1, 0
	v_add_co_u32 v10, vcc_lo, 0xc8, v10
	v_cmp_ge_i64_e64 s8, s[0:1], s[4:5]
	v_add_co_ci_u32_e64 v11, null, 0, v11, vcc_lo
	v_add_co_u32 v12, vcc_lo, v12, 16
	v_add_co_ci_u32_e64 v13, null, 0, v13, vcc_lo
	s_and_b32 vcc_lo, exec_lo, s8
	s_cbranch_vccnz .LBB38_15
.LBB38_13:                              ; =>This Inner Loop Header: Depth=1
	v_add_co_u32 v16, s8, v15, s0
	v_add_co_ci_u32_e64 v17, null, 0, s1, s8
	s_mov_b32 s8, exec_lo
	v_cmpx_gt_i64_e64 s[4:5], v[16:17]
	s_cbranch_execz .LBB38_12
; %bb.14:                               ;   in Loop: Header=BB38_13 Depth=1
	global_load_dwordx2 v[16:17], v[12:13], off
	global_load_dword v19, v[10:11], off
	s_waitcnt vmcnt(1)
	v_sub_co_u32 v16, vcc_lo, v16, s12
	v_subrev_co_ci_u32_e64 v18, null, 0, v17, vcc_lo
	v_mad_u64_u32 v[16:17], null, v16, 40, v[8:9]
	v_mad_u64_u32 v[17:18], null, v18, 40, v[17:18]
	s_waitcnt vmcnt(0)
	v_cvt_f64_f32_e32 v[18:19], v19
	global_load_dwordx2 v[16:17], v[16:17], off
	s_waitcnt vmcnt(0)
	v_fma_f64 v[6:7], v[18:19], v[16:17], v[6:7]
	s_branch .LBB38_12
.LBB38_15:
	s_inst_prefetch 0x2
	v_lshlrev_b32_e32 v10, 3, v0
	s_and_b32 vcc_lo, exec_lo, s13
	ds_write_b64 v10, v[6:7]
	s_waitcnt lgkmcnt(0)
	buffer_gl0_inv
	s_cbranch_vccz .LBB38_25
; %bb.16:
	s_mov_b32 s0, exec_lo
	v_cmpx_gt_u32_e32 25, v0
	s_cbranch_execz .LBB38_18
; %bb.17:
	ds_read2_b64 v[15:18], v10 offset1:25
	s_waitcnt lgkmcnt(0)
	v_add_f64 v[8:9], v[17:18], v[15:16]
	ds_write_b64 v10, v[8:9]
.LBB38_18:
	s_or_b32 exec_lo, exec_lo, s0
	s_mov_b32 s0, exec_lo
	s_waitcnt lgkmcnt(0)
	buffer_gl0_inv
	v_cmpx_eq_u16_e32 0, v14
	s_cbranch_execz .LBB38_20
; %bb.19:
	ds_read2_b64 v[15:18], v10 offset1:4
	s_waitcnt lgkmcnt(0)
	v_add_f64 v[8:9], v[17:18], v[15:16]
	ds_write_b64 v10, v[8:9]
.LBB38_20:
	s_or_b32 exec_lo, exec_lo, s0
	s_mov_b32 s0, exec_lo
	s_waitcnt lgkmcnt(0)
	buffer_gl0_inv
	v_cmpx_gt_u16_e32 2, v14
	s_cbranch_execz .LBB38_22
; %bb.21:
	ds_read2_b64 v[11:14], v10 offset1:2
	s_waitcnt lgkmcnt(0)
	v_add_f64 v[8:9], v[13:14], v[11:12]
	ds_write_b64 v10, v[8:9]
.LBB38_22:
	s_or_b32 exec_lo, exec_lo, s0
	v_mov_b32_e32 v9, v7
	v_mov_b32_e32 v8, v6
	s_mov_b32 s0, exec_lo
	s_waitcnt lgkmcnt(0)
	buffer_gl0_inv
	v_cmpx_gt_u32_e32 5, v0
	s_cbranch_execz .LBB38_24
; %bb.23:
	v_lshl_add_u32 v8, v0, 5, v10
	ds_read2_b64 v[11:14], v8 offset1:1
	s_waitcnt lgkmcnt(0)
	v_add_f64 v[8:9], v[11:12], v[13:14]
.LBB38_24:
	s_or_b32 exec_lo, exec_lo, s0
	s_branch .LBB38_35
.LBB38_25:
                                        ; implicit-def: $vgpr8_vgpr9
	s_cbranch_execz .LBB38_35
; %bb.26:
	v_cmp_gt_u32_e32 vcc_lo, 10, v0
	s_and_saveexec_b32 s0, vcc_lo
	s_cbranch_execz .LBB38_28
; %bb.27:
	ds_read2_b64 v[11:14], v10 offset1:40
	s_waitcnt lgkmcnt(0)
	v_add_f64 v[8:9], v[13:14], v[11:12]
	ds_write_b64 v10, v[8:9]
.LBB38_28:
	s_or_b32 exec_lo, exec_lo, s0
	s_mov_b32 s1, exec_lo
	s_waitcnt lgkmcnt(0)
	buffer_gl0_inv
	v_cmpx_gt_u32_e32 20, v0
	s_cbranch_execz .LBB38_30
; %bb.29:
	ds_read2_b64 v[11:14], v10 offset1:20
	s_waitcnt lgkmcnt(0)
	v_add_f64 v[8:9], v[13:14], v[11:12]
	ds_write_b64 v10, v[8:9]
.LBB38_30:
	s_or_b32 exec_lo, exec_lo, s1
	s_waitcnt lgkmcnt(0)
	buffer_gl0_inv
	s_and_saveexec_b32 s0, vcc_lo
	s_cbranch_execz .LBB38_32
; %bb.31:
	ds_read2_b64 v[11:14], v10 offset1:10
	s_waitcnt lgkmcnt(0)
	v_add_f64 v[8:9], v[13:14], v[11:12]
	ds_write_b64 v10, v[8:9]
.LBB38_32:
	s_or_b32 exec_lo, exec_lo, s0
	s_mov_b32 s0, exec_lo
	s_waitcnt lgkmcnt(0)
	buffer_gl0_inv
	v_cmpx_gt_u32_e32 5, v0
	s_cbranch_execz .LBB38_34
; %bb.33:
	ds_read2_b64 v[6:9], v10 offset1:5
	s_waitcnt lgkmcnt(0)
	v_add_f64 v[6:7], v[6:7], v[8:9]
.LBB38_34:
	s_or_b32 exec_lo, exec_lo, s0
	v_mov_b32_e32 v9, v7
	v_mov_b32_e32 v8, v6
.LBB38_35:
	v_cmp_gt_u32_e32 vcc_lo, 5, v0
	s_and_b32 exec_lo, exec_lo, vcc_lo
	s_cbranch_execz .LBB38_40
; %bb.36:
	v_mul_f64 v[4:5], v[4:5], v[8:9]
	v_lshlrev_b64 v[0:1], 3, v[0:1]
	s_mul_i32 s0, s7, 40
	s_mul_hi_u32 s1, s6, 40
	s_mul_i32 s4, s6, 40
	s_mov_b32 s5, exec_lo
	v_cmpx_eq_f64_e32 0, v[2:3]
	s_xor_b32 s5, exec_lo, s5
	s_cbranch_execz .LBB38_38
; %bb.37:
	s_add_i32 s6, s1, s0
	s_add_u32 s7, s2, s4
	s_addc_u32 s6, s3, s6
	v_add_co_u32 v0, vcc_lo, s7, v0
	v_add_co_ci_u32_e64 v1, null, s6, v1, vcc_lo
                                        ; implicit-def: $vgpr2_vgpr3
	global_store_dwordx2 v[0:1], v[4:5], off
                                        ; implicit-def: $vgpr0_vgpr1
                                        ; implicit-def: $vgpr4_vgpr5
.LBB38_38:
	s_andn2_saveexec_b32 s5, s5
	s_cbranch_execz .LBB38_40
; %bb.39:
	s_add_i32 s1, s1, s0
	s_add_u32 s0, s2, s4
	s_addc_u32 s1, s3, s1
	v_add_co_u32 v0, vcc_lo, s0, v0
	v_add_co_ci_u32_e64 v1, null, s1, v1, vcc_lo
	global_load_dwordx2 v[6:7], v[0:1], off
	s_waitcnt vmcnt(0)
	v_fma_f64 v[2:3], v[2:3], v[6:7], v[4:5]
	global_store_dwordx2 v[0:1], v[2:3], off
.LBB38_40:
	s_endpgm
	.section	.rodata,"a",@progbits
	.p2align	6, 0x0
	.amdhsa_kernel _ZN9rocsparseL18bsrxmvn_5x5_kernelILj50EdllfddEEvT2_20rocsparse_direction_NS_24const_host_device_scalarIT0_EES1_PKS1_PKT1_SA_S7_PKT3_PKT4_S5_PT5_21rocsparse_index_base_b
		.amdhsa_group_segment_fixed_size 400
		.amdhsa_private_segment_fixed_size 0
		.amdhsa_kernarg_size 104
		.amdhsa_user_sgpr_count 6
		.amdhsa_user_sgpr_private_segment_buffer 1
		.amdhsa_user_sgpr_dispatch_ptr 0
		.amdhsa_user_sgpr_queue_ptr 0
		.amdhsa_user_sgpr_kernarg_segment_ptr 1
		.amdhsa_user_sgpr_dispatch_id 0
		.amdhsa_user_sgpr_flat_scratch_init 0
		.amdhsa_user_sgpr_private_segment_size 0
		.amdhsa_wavefront_size32 1
		.amdhsa_uses_dynamic_stack 0
		.amdhsa_system_sgpr_private_segment_wavefront_offset 0
		.amdhsa_system_sgpr_workgroup_id_x 1
		.amdhsa_system_sgpr_workgroup_id_y 0
		.amdhsa_system_sgpr_workgroup_id_z 0
		.amdhsa_system_sgpr_workgroup_info 0
		.amdhsa_system_vgpr_workitem_id 0
		.amdhsa_next_free_vgpr 20
		.amdhsa_next_free_sgpr 20
		.amdhsa_reserve_vcc 1
		.amdhsa_reserve_flat_scratch 0
		.amdhsa_float_round_mode_32 0
		.amdhsa_float_round_mode_16_64 0
		.amdhsa_float_denorm_mode_32 3
		.amdhsa_float_denorm_mode_16_64 3
		.amdhsa_dx10_clamp 1
		.amdhsa_ieee_mode 1
		.amdhsa_fp16_overflow 0
		.amdhsa_workgroup_processor_mode 1
		.amdhsa_memory_ordered 1
		.amdhsa_forward_progress 1
		.amdhsa_shared_vgpr_count 0
		.amdhsa_exception_fp_ieee_invalid_op 0
		.amdhsa_exception_fp_denorm_src 0
		.amdhsa_exception_fp_ieee_div_zero 0
		.amdhsa_exception_fp_ieee_overflow 0
		.amdhsa_exception_fp_ieee_underflow 0
		.amdhsa_exception_fp_ieee_inexact 0
		.amdhsa_exception_int_div_zero 0
	.end_amdhsa_kernel
	.section	.text._ZN9rocsparseL18bsrxmvn_5x5_kernelILj50EdllfddEEvT2_20rocsparse_direction_NS_24const_host_device_scalarIT0_EES1_PKS1_PKT1_SA_S7_PKT3_PKT4_S5_PT5_21rocsparse_index_base_b,"axG",@progbits,_ZN9rocsparseL18bsrxmvn_5x5_kernelILj50EdllfddEEvT2_20rocsparse_direction_NS_24const_host_device_scalarIT0_EES1_PKS1_PKT1_SA_S7_PKT3_PKT4_S5_PT5_21rocsparse_index_base_b,comdat
.Lfunc_end38:
	.size	_ZN9rocsparseL18bsrxmvn_5x5_kernelILj50EdllfddEEvT2_20rocsparse_direction_NS_24const_host_device_scalarIT0_EES1_PKS1_PKT1_SA_S7_PKT3_PKT4_S5_PT5_21rocsparse_index_base_b, .Lfunc_end38-_ZN9rocsparseL18bsrxmvn_5x5_kernelILj50EdllfddEEvT2_20rocsparse_direction_NS_24const_host_device_scalarIT0_EES1_PKS1_PKT1_SA_S7_PKT3_PKT4_S5_PT5_21rocsparse_index_base_b
                                        ; -- End function
	.set _ZN9rocsparseL18bsrxmvn_5x5_kernelILj50EdllfddEEvT2_20rocsparse_direction_NS_24const_host_device_scalarIT0_EES1_PKS1_PKT1_SA_S7_PKT3_PKT4_S5_PT5_21rocsparse_index_base_b.num_vgpr, 20
	.set _ZN9rocsparseL18bsrxmvn_5x5_kernelILj50EdllfddEEvT2_20rocsparse_direction_NS_24const_host_device_scalarIT0_EES1_PKS1_PKT1_SA_S7_PKT3_PKT4_S5_PT5_21rocsparse_index_base_b.num_agpr, 0
	.set _ZN9rocsparseL18bsrxmvn_5x5_kernelILj50EdllfddEEvT2_20rocsparse_direction_NS_24const_host_device_scalarIT0_EES1_PKS1_PKT1_SA_S7_PKT3_PKT4_S5_PT5_21rocsparse_index_base_b.numbered_sgpr, 20
	.set _ZN9rocsparseL18bsrxmvn_5x5_kernelILj50EdllfddEEvT2_20rocsparse_direction_NS_24const_host_device_scalarIT0_EES1_PKS1_PKT1_SA_S7_PKT3_PKT4_S5_PT5_21rocsparse_index_base_b.num_named_barrier, 0
	.set _ZN9rocsparseL18bsrxmvn_5x5_kernelILj50EdllfddEEvT2_20rocsparse_direction_NS_24const_host_device_scalarIT0_EES1_PKS1_PKT1_SA_S7_PKT3_PKT4_S5_PT5_21rocsparse_index_base_b.private_seg_size, 0
	.set _ZN9rocsparseL18bsrxmvn_5x5_kernelILj50EdllfddEEvT2_20rocsparse_direction_NS_24const_host_device_scalarIT0_EES1_PKS1_PKT1_SA_S7_PKT3_PKT4_S5_PT5_21rocsparse_index_base_b.uses_vcc, 1
	.set _ZN9rocsparseL18bsrxmvn_5x5_kernelILj50EdllfddEEvT2_20rocsparse_direction_NS_24const_host_device_scalarIT0_EES1_PKS1_PKT1_SA_S7_PKT3_PKT4_S5_PT5_21rocsparse_index_base_b.uses_flat_scratch, 0
	.set _ZN9rocsparseL18bsrxmvn_5x5_kernelILj50EdllfddEEvT2_20rocsparse_direction_NS_24const_host_device_scalarIT0_EES1_PKS1_PKT1_SA_S7_PKT3_PKT4_S5_PT5_21rocsparse_index_base_b.has_dyn_sized_stack, 0
	.set _ZN9rocsparseL18bsrxmvn_5x5_kernelILj50EdllfddEEvT2_20rocsparse_direction_NS_24const_host_device_scalarIT0_EES1_PKS1_PKT1_SA_S7_PKT3_PKT4_S5_PT5_21rocsparse_index_base_b.has_recursion, 0
	.set _ZN9rocsparseL18bsrxmvn_5x5_kernelILj50EdllfddEEvT2_20rocsparse_direction_NS_24const_host_device_scalarIT0_EES1_PKS1_PKT1_SA_S7_PKT3_PKT4_S5_PT5_21rocsparse_index_base_b.has_indirect_call, 0
	.section	.AMDGPU.csdata,"",@progbits
; Kernel info:
; codeLenInByte = 1516
; TotalNumSgprs: 22
; NumVgprs: 20
; ScratchSize: 0
; MemoryBound: 1
; FloatMode: 240
; IeeeMode: 1
; LDSByteSize: 400 bytes/workgroup (compile time only)
; SGPRBlocks: 0
; VGPRBlocks: 2
; NumSGPRsForWavesPerEU: 22
; NumVGPRsForWavesPerEU: 20
; Occupancy: 16
; WaveLimiterHint : 1
; COMPUTE_PGM_RSRC2:SCRATCH_EN: 0
; COMPUTE_PGM_RSRC2:USER_SGPR: 6
; COMPUTE_PGM_RSRC2:TRAP_HANDLER: 0
; COMPUTE_PGM_RSRC2:TGID_X_EN: 1
; COMPUTE_PGM_RSRC2:TGID_Y_EN: 0
; COMPUTE_PGM_RSRC2:TGID_Z_EN: 0
; COMPUTE_PGM_RSRC2:TIDIG_COMP_CNT: 0
	.section	.text._ZN9rocsparseL18bsrxmvn_5x5_kernelILj50E21rocsparse_complex_numIdEiiS1_IfES2_S2_EEvT2_20rocsparse_direction_NS_24const_host_device_scalarIT0_EES4_PKS4_PKT1_SD_SA_PKT3_PKT4_S8_PT5_21rocsparse_index_base_b,"axG",@progbits,_ZN9rocsparseL18bsrxmvn_5x5_kernelILj50E21rocsparse_complex_numIdEiiS1_IfES2_S2_EEvT2_20rocsparse_direction_NS_24const_host_device_scalarIT0_EES4_PKS4_PKT1_SD_SA_PKT3_PKT4_S8_PT5_21rocsparse_index_base_b,comdat
	.globl	_ZN9rocsparseL18bsrxmvn_5x5_kernelILj50E21rocsparse_complex_numIdEiiS1_IfES2_S2_EEvT2_20rocsparse_direction_NS_24const_host_device_scalarIT0_EES4_PKS4_PKT1_SD_SA_PKT3_PKT4_S8_PT5_21rocsparse_index_base_b ; -- Begin function _ZN9rocsparseL18bsrxmvn_5x5_kernelILj50E21rocsparse_complex_numIdEiiS1_IfES2_S2_EEvT2_20rocsparse_direction_NS_24const_host_device_scalarIT0_EES4_PKS4_PKT1_SD_SA_PKT3_PKT4_S8_PT5_21rocsparse_index_base_b
	.p2align	8
	.type	_ZN9rocsparseL18bsrxmvn_5x5_kernelILj50E21rocsparse_complex_numIdEiiS1_IfES2_S2_EEvT2_20rocsparse_direction_NS_24const_host_device_scalarIT0_EES4_PKS4_PKT1_SD_SA_PKT3_PKT4_S8_PT5_21rocsparse_index_base_b,@function
_ZN9rocsparseL18bsrxmvn_5x5_kernelILj50E21rocsparse_complex_numIdEiiS1_IfES2_S2_EEvT2_20rocsparse_direction_NS_24const_host_device_scalarIT0_EES4_PKS4_PKT1_SD_SA_PKT3_PKT4_S8_PT5_21rocsparse_index_base_b: ; @_ZN9rocsparseL18bsrxmvn_5x5_kernelILj50E21rocsparse_complex_numIdEiiS1_IfES2_S2_EEvT2_20rocsparse_direction_NS_24const_host_device_scalarIT0_EES4_PKS4_PKT1_SD_SA_PKT3_PKT4_S8_PT5_21rocsparse_index_base_b
; %bb.0:
	s_clause 0x1
	s_load_dwordx2 s[10:11], s[4:5], 0x68
	s_load_dwordx2 s[0:1], s[4:5], 0x8
	s_add_u32 s7, s4, 8
	s_addc_u32 s8, s5, 0
	s_add_u32 s9, s4, 0x50
	s_addc_u32 s12, s5, 0
	s_load_dwordx2 s[2:3], s[4:5], 0x50
	s_waitcnt lgkmcnt(0)
	s_bitcmp1_b32 s11, 0
	s_cselect_b32 s0, s7, s0
	s_cselect_b32 s1, s8, s1
	v_mov_b32_e32 v1, s0
	v_mov_b32_e32 v2, s1
	s_cselect_b32 s0, s9, s2
	s_cselect_b32 s1, s12, s3
	flat_load_dwordx4 v[5:8], v[1:2]
	v_mov_b32_e32 v1, s0
	v_mov_b32_e32 v2, s1
	flat_load_dwordx4 v[1:4], v[1:2]
	s_waitcnt vmcnt(1) lgkmcnt(1)
	v_cmp_eq_f64_e32 vcc_lo, 0, v[5:6]
	v_cmp_eq_f64_e64 s0, 0, v[7:8]
	s_and_b32 s2, vcc_lo, s0
	s_mov_b32 s0, -1
	s_and_saveexec_b32 s1, s2
	s_cbranch_execz .LBB39_2
; %bb.1:
	s_waitcnt vmcnt(0) lgkmcnt(0)
	v_cmp_neq_f64_e32 vcc_lo, 1.0, v[1:2]
	v_cmp_neq_f64_e64 s0, 0, v[3:4]
	s_or_b32 s0, vcc_lo, s0
	s_orn2_b32 s0, s0, exec_lo
.LBB39_2:
	s_or_b32 exec_lo, exec_lo, s1
	s_and_saveexec_b32 s1, s0
	s_cbranch_execz .LBB39_35
; %bb.3:
	s_clause 0x1
	s_load_dwordx4 s[0:3], s[4:5], 0x20
	s_load_dwordx2 s[8:9], s[4:5], 0x30
	s_waitcnt lgkmcnt(0)
	s_cmp_eq_u64 s[0:1], 0
	s_cbranch_scc1 .LBB39_5
; %bb.4:
	s_ashr_i32 s7, s6, 31
	s_lshl_b64 s[6:7], s[6:7], 2
	s_add_u32 s0, s0, s6
	s_addc_u32 s1, s1, s7
	s_load_dword s0, s[0:1], 0x0
	s_waitcnt lgkmcnt(0)
	s_sub_i32 s6, s0, s10
.LBB39_5:
	s_load_dword s0, s[4:5], 0x4
	v_mul_u32_u24_e32 v9, 0x3334, v0
	v_mov_b32_e32 v11, 0
	v_mov_b32_e32 v12, 0
	v_lshrrev_b32_e32 v13, 16, v9
	v_mov_b32_e32 v9, 0
	v_mov_b32_e32 v10, 0
	v_mul_lo_u16 v14, v13, 5
	v_sub_nc_u16 v18, v0, v14
	s_waitcnt lgkmcnt(0)
	s_cmp_eq_u32 s0, 1
	s_cselect_b32 vcc_lo, -1, 0
	s_cmp_lg_u32 s0, 1
	s_cselect_b32 s11, -1, 0
	s_ashr_i32 s7, s6, 31
	s_lshl_b64 s[0:1], s[6:7], 2
	s_add_u32 s2, s2, s0
	s_addc_u32 s3, s3, s1
	s_add_u32 s7, s2, 4
	s_addc_u32 s12, s3, 0
	s_add_u32 s0, s8, s0
	s_addc_u32 s1, s9, s1
	s_cmp_eq_u64 s[8:9], 0
	s_cselect_b32 s1, s12, s1
	s_cselect_b32 s0, s7, s0
	s_load_dword s7, s[2:3], 0x0
	s_load_dword s14, s[0:1], 0x0
	s_load_dwordx2 s[8:9], s[4:5], 0x60
	s_waitcnt lgkmcnt(0)
	s_cmp_ge_i32 s7, s14
	s_cbranch_scc1 .LBB39_10
; %bb.6:
	v_mul_lo_u16 v9, v13, 52
	s_clause 0x1
	s_load_dwordx2 s[12:13], s[4:5], 0x48
	s_load_dwordx4 s[0:3], s[4:5], 0x38
	v_mov_b32_e32 v15, 0xa3e
	v_mov_b32_e32 v11, 0
	;; [unrolled: 1-line block ×3, first 2 shown]
	v_lshrrev_b16 v9, 8, v9
	s_mul_i32 s4, s10, 25
	v_mul_u32_u24_sdwa v19, v0, v15 dst_sel:DWORD dst_unused:UNUSED_PAD src0_sel:WORD_0 src1_sel:DWORD
	v_mov_b32_e32 v14, 0
	s_sub_i32 s5, s7, s10
	v_mul_lo_u16 v9, v9, 5
	v_sub_nc_u16 v13, v13, v9
	s_waitcnt vmcnt(0)
	v_mad_u64_u32 v[9:10], null, s7, 25, v[0:1]
	v_and_b32_e32 v10, 0xffff, v18
	v_and_b32_e32 v16, 0xff, v13
	v_subrev_nc_u32_e32 v13, s4, v9
	v_cndmask_b32_e32 v15, v10, v16, vcc_lo
	v_mov_b32_e32 v9, v11
	v_mov_b32_e32 v10, v12
	s_sub_i32 s4, s14, s10
	s_branch .LBB39_8
.LBB39_7:                               ;   in Loop: Header=BB39_8 Depth=1
	s_or_b32 exec_lo, exec_lo, s7
	v_add_nc_u32_e32 v13, 50, v13
	s_add_i32 s5, s5, 2
	s_cmp_ge_i32 s5, s4
	s_cbranch_scc1 .LBB39_10
.LBB39_8:                               ; =>This Inner Loop Header: Depth=1
	v_add_nc_u32_sdwa v16, v19, s5 dst_sel:DWORD dst_unused:UNUSED_PAD src0_sel:WORD_1 src1_sel:DWORD
	s_mov_b32 s7, exec_lo
	v_cmpx_gt_i32_e64 s4, v16
	s_cbranch_execz .LBB39_7
; %bb.9:                                ;   in Loop: Header=BB39_8 Depth=1
	v_ashrrev_i32_e32 v17, 31, v16
	v_lshlrev_b64 v[16:17], 2, v[16:17]
	s_waitcnt lgkmcnt(0)
	v_add_co_u32 v16, vcc_lo, s0, v16
	v_add_co_ci_u32_e64 v17, null, s1, v17, vcc_lo
	global_load_dword v20, v[16:17], off
	v_lshlrev_b64 v[16:17], 3, v[13:14]
	v_add_co_u32 v16, vcc_lo, s2, v16
	v_add_co_ci_u32_e64 v17, null, s3, v17, vcc_lo
	s_waitcnt vmcnt(0)
	v_subrev_nc_u32_e32 v20, s10, v20
	v_mad_u64_u32 v[20:21], null, v20, 5, v[15:16]
	global_load_dwordx2 v[16:17], v[16:17], off
	v_ashrrev_i32_e32 v21, 31, v20
	v_lshlrev_b64 v[20:21], 4, v[20:21]
	v_add_co_u32 v20, vcc_lo, s12, v20
	v_add_co_ci_u32_e64 v21, null, s13, v21, vcc_lo
	global_load_dwordx4 v[20:23], v[20:21], off
	s_waitcnt vmcnt(1)
	v_cvt_f64_f32_e32 v[24:25], v16
	v_cvt_f64_f32_e32 v[16:17], v17
	s_waitcnt vmcnt(0)
	v_fma_f64 v[9:10], v[24:25], v[20:21], v[9:10]
	v_fma_f64 v[11:12], v[16:17], v[20:21], v[11:12]
	v_fma_f64 v[9:10], -v[16:17], v[22:23], v[9:10]
	v_fma_f64 v[11:12], v[24:25], v[22:23], v[11:12]
	s_branch .LBB39_7
.LBB39_10:
	v_lshlrev_b32_e32 v17, 4, v0
	s_and_b32 vcc_lo, exec_lo, s11
	ds_write_b128 v17, v[9:12]
	s_waitcnt vmcnt(0) lgkmcnt(0)
	buffer_gl0_inv
	s_cbranch_vccz .LBB39_20
; %bb.11:
	s_mov_b32 s0, exec_lo
	v_cmpx_gt_u32_e32 25, v0
	s_cbranch_execz .LBB39_13
; %bb.12:
	ds_read_b128 v[13:16], v17 offset:400
	ds_read_b128 v[19:22], v17
	s_waitcnt lgkmcnt(0)
	v_add_f64 v[13:14], v[13:14], v[19:20]
	v_add_f64 v[15:16], v[15:16], v[21:22]
	ds_write_b128 v17, v[13:16]
.LBB39_13:
	s_or_b32 exec_lo, exec_lo, s0
	s_mov_b32 s0, exec_lo
	s_waitcnt lgkmcnt(0)
	buffer_gl0_inv
	v_cmpx_eq_u16_e32 0, v18
	s_cbranch_execz .LBB39_15
; %bb.14:
	ds_read_b128 v[13:16], v17 offset:64
	ds_read_b128 v[19:22], v17
	s_waitcnt lgkmcnt(0)
	v_add_f64 v[13:14], v[13:14], v[19:20]
	v_add_f64 v[15:16], v[15:16], v[21:22]
	ds_write_b128 v17, v[13:16]
.LBB39_15:
	s_or_b32 exec_lo, exec_lo, s0
	s_mov_b32 s0, exec_lo
	s_waitcnt lgkmcnt(0)
	buffer_gl0_inv
	v_cmpx_gt_u16_e32 2, v18
	s_cbranch_execz .LBB39_17
; %bb.16:
	ds_read_b128 v[13:16], v17
	ds_read_b128 v[18:21], v17 offset:32
	s_waitcnt lgkmcnt(0)
	v_add_f64 v[13:14], v[18:19], v[13:14]
	v_add_f64 v[15:16], v[20:21], v[15:16]
	ds_write_b128 v17, v[13:16]
.LBB39_17:
	s_or_b32 exec_lo, exec_lo, s0
	v_mov_b32_e32 v16, v12
	v_mov_b32_e32 v14, v10
	;; [unrolled: 1-line block ×4, first 2 shown]
	s_mov_b32 s0, exec_lo
	s_waitcnt lgkmcnt(0)
	buffer_gl0_inv
	v_cmpx_gt_u32_e32 5, v0
	s_cbranch_execz .LBB39_19
; %bb.18:
	v_lshl_add_u32 v18, v0, 6, v17
	ds_read_b128 v[13:16], v18
	ds_read_b128 v[18:21], v18 offset:16
	s_waitcnt lgkmcnt(0)
	v_add_f64 v[13:14], v[18:19], v[13:14]
	v_add_f64 v[15:16], v[20:21], v[15:16]
.LBB39_19:
	s_or_b32 exec_lo, exec_lo, s0
	s_branch .LBB39_30
.LBB39_20:
                                        ; implicit-def: $vgpr15_vgpr16
                                        ; implicit-def: $vgpr13_vgpr14
	s_cbranch_execz .LBB39_30
; %bb.21:
	v_cmp_gt_u32_e32 vcc_lo, 10, v0
	s_and_saveexec_b32 s0, vcc_lo
	s_cbranch_execz .LBB39_23
; %bb.22:
	ds_read_b128 v[13:16], v17 offset:640
	ds_read_b128 v[18:21], v17
	s_waitcnt lgkmcnt(0)
	v_add_f64 v[13:14], v[13:14], v[18:19]
	v_add_f64 v[15:16], v[15:16], v[20:21]
	ds_write_b128 v17, v[13:16]
.LBB39_23:
	s_or_b32 exec_lo, exec_lo, s0
	s_mov_b32 s1, exec_lo
	s_waitcnt lgkmcnt(0)
	buffer_gl0_inv
	v_cmpx_gt_u32_e32 20, v0
	s_cbranch_execz .LBB39_25
; %bb.24:
	ds_read_b128 v[13:16], v17 offset:320
	ds_read_b128 v[18:21], v17
	s_waitcnt lgkmcnt(0)
	v_add_f64 v[13:14], v[13:14], v[18:19]
	v_add_f64 v[15:16], v[15:16], v[20:21]
	ds_write_b128 v17, v[13:16]
.LBB39_25:
	s_or_b32 exec_lo, exec_lo, s1
	s_waitcnt lgkmcnt(0)
	buffer_gl0_inv
	s_and_saveexec_b32 s0, vcc_lo
	s_cbranch_execz .LBB39_27
; %bb.26:
	ds_read_b128 v[13:16], v17 offset:160
	ds_read_b128 v[18:21], v17
	s_waitcnt lgkmcnt(0)
	v_add_f64 v[13:14], v[13:14], v[18:19]
	v_add_f64 v[15:16], v[15:16], v[20:21]
	ds_write_b128 v17, v[13:16]
.LBB39_27:
	s_or_b32 exec_lo, exec_lo, s0
	s_mov_b32 s0, exec_lo
	s_waitcnt lgkmcnt(0)
	buffer_gl0_inv
	v_cmpx_gt_u32_e32 5, v0
	s_cbranch_execz .LBB39_29
; %bb.28:
	ds_read_b128 v[9:12], v17 offset:80
	ds_read_b128 v[13:16], v17
	s_waitcnt lgkmcnt(0)
	v_add_f64 v[9:10], v[9:10], v[13:14]
	v_add_f64 v[11:12], v[11:12], v[15:16]
.LBB39_29:
	s_or_b32 exec_lo, exec_lo, s0
	v_mov_b32_e32 v16, v12
	v_mov_b32_e32 v14, v10
	v_mov_b32_e32 v15, v11
	v_mov_b32_e32 v13, v9
.LBB39_30:
	v_cmp_gt_u32_e32 vcc_lo, 5, v0
	s_and_b32 exec_lo, exec_lo, vcc_lo
	s_cbranch_execz .LBB39_35
; %bb.31:
	v_mul_f64 v[9:10], v[15:16], -v[7:8]
	v_mul_f64 v[11:12], v[5:6], v[15:16]
	v_cmp_eq_f64_e32 vcc_lo, 0, v[1:2]
	v_cmp_eq_f64_e64 s0, 0, v[3:4]
	v_fma_f64 v[5:6], v[5:6], v[13:14], v[9:10]
	v_fma_f64 v[7:8], v[7:8], v[13:14], v[11:12]
	s_and_b32 s0, vcc_lo, s0
	s_and_saveexec_b32 s1, s0
	s_xor_b32 s0, exec_lo, s1
	s_cbranch_execz .LBB39_33
; %bb.32:
	v_mad_u64_u32 v[0:1], null, s6, 5, v[0:1]
	v_mov_b32_e32 v1, 0
	v_lshlrev_b64 v[0:1], 4, v[0:1]
	v_add_co_u32 v0, vcc_lo, s8, v0
	v_add_co_ci_u32_e64 v1, null, s9, v1, vcc_lo
	global_store_dwordx4 v[0:1], v[5:8], off
                                        ; implicit-def: $vgpr0
                                        ; implicit-def: $vgpr1_vgpr2
                                        ; implicit-def: $vgpr5_vgpr6
.LBB39_33:
	s_andn2_saveexec_b32 s0, s0
	s_cbranch_execz .LBB39_35
; %bb.34:
	v_mad_u64_u32 v[9:10], null, s6, 5, v[0:1]
	v_mov_b32_e32 v10, 0
	v_lshlrev_b64 v[9:10], 4, v[9:10]
	v_add_co_u32 v13, vcc_lo, s8, v9
	v_add_co_ci_u32_e64 v14, null, s9, v10, vcc_lo
	global_load_dwordx4 v[9:12], v[13:14], off
	s_waitcnt vmcnt(0)
	v_fma_f64 v[5:6], v[1:2], v[9:10], v[5:6]
	v_fma_f64 v[7:8], v[3:4], v[9:10], v[7:8]
	v_fma_f64 v[3:4], -v[3:4], v[11:12], v[5:6]
	v_fma_f64 v[5:6], v[1:2], v[11:12], v[7:8]
	global_store_dwordx4 v[13:14], v[3:6], off
.LBB39_35:
	s_endpgm
	.section	.rodata,"a",@progbits
	.p2align	6, 0x0
	.amdhsa_kernel _ZN9rocsparseL18bsrxmvn_5x5_kernelILj50E21rocsparse_complex_numIdEiiS1_IfES2_S2_EEvT2_20rocsparse_direction_NS_24const_host_device_scalarIT0_EES4_PKS4_PKT1_SD_SA_PKT3_PKT4_S8_PT5_21rocsparse_index_base_b
		.amdhsa_group_segment_fixed_size 800
		.amdhsa_private_segment_fixed_size 0
		.amdhsa_kernarg_size 112
		.amdhsa_user_sgpr_count 6
		.amdhsa_user_sgpr_private_segment_buffer 1
		.amdhsa_user_sgpr_dispatch_ptr 0
		.amdhsa_user_sgpr_queue_ptr 0
		.amdhsa_user_sgpr_kernarg_segment_ptr 1
		.amdhsa_user_sgpr_dispatch_id 0
		.amdhsa_user_sgpr_flat_scratch_init 0
		.amdhsa_user_sgpr_private_segment_size 0
		.amdhsa_wavefront_size32 1
		.amdhsa_uses_dynamic_stack 0
		.amdhsa_system_sgpr_private_segment_wavefront_offset 0
		.amdhsa_system_sgpr_workgroup_id_x 1
		.amdhsa_system_sgpr_workgroup_id_y 0
		.amdhsa_system_sgpr_workgroup_id_z 0
		.amdhsa_system_sgpr_workgroup_info 0
		.amdhsa_system_vgpr_workitem_id 0
		.amdhsa_next_free_vgpr 26
		.amdhsa_next_free_sgpr 15
		.amdhsa_reserve_vcc 1
		.amdhsa_reserve_flat_scratch 0
		.amdhsa_float_round_mode_32 0
		.amdhsa_float_round_mode_16_64 0
		.amdhsa_float_denorm_mode_32 3
		.amdhsa_float_denorm_mode_16_64 3
		.amdhsa_dx10_clamp 1
		.amdhsa_ieee_mode 1
		.amdhsa_fp16_overflow 0
		.amdhsa_workgroup_processor_mode 1
		.amdhsa_memory_ordered 1
		.amdhsa_forward_progress 1
		.amdhsa_shared_vgpr_count 0
		.amdhsa_exception_fp_ieee_invalid_op 0
		.amdhsa_exception_fp_denorm_src 0
		.amdhsa_exception_fp_ieee_div_zero 0
		.amdhsa_exception_fp_ieee_overflow 0
		.amdhsa_exception_fp_ieee_underflow 0
		.amdhsa_exception_fp_ieee_inexact 0
		.amdhsa_exception_int_div_zero 0
	.end_amdhsa_kernel
	.section	.text._ZN9rocsparseL18bsrxmvn_5x5_kernelILj50E21rocsparse_complex_numIdEiiS1_IfES2_S2_EEvT2_20rocsparse_direction_NS_24const_host_device_scalarIT0_EES4_PKS4_PKT1_SD_SA_PKT3_PKT4_S8_PT5_21rocsparse_index_base_b,"axG",@progbits,_ZN9rocsparseL18bsrxmvn_5x5_kernelILj50E21rocsparse_complex_numIdEiiS1_IfES2_S2_EEvT2_20rocsparse_direction_NS_24const_host_device_scalarIT0_EES4_PKS4_PKT1_SD_SA_PKT3_PKT4_S8_PT5_21rocsparse_index_base_b,comdat
.Lfunc_end39:
	.size	_ZN9rocsparseL18bsrxmvn_5x5_kernelILj50E21rocsparse_complex_numIdEiiS1_IfES2_S2_EEvT2_20rocsparse_direction_NS_24const_host_device_scalarIT0_EES4_PKS4_PKT1_SD_SA_PKT3_PKT4_S8_PT5_21rocsparse_index_base_b, .Lfunc_end39-_ZN9rocsparseL18bsrxmvn_5x5_kernelILj50E21rocsparse_complex_numIdEiiS1_IfES2_S2_EEvT2_20rocsparse_direction_NS_24const_host_device_scalarIT0_EES4_PKS4_PKT1_SD_SA_PKT3_PKT4_S8_PT5_21rocsparse_index_base_b
                                        ; -- End function
	.set _ZN9rocsparseL18bsrxmvn_5x5_kernelILj50E21rocsparse_complex_numIdEiiS1_IfES2_S2_EEvT2_20rocsparse_direction_NS_24const_host_device_scalarIT0_EES4_PKS4_PKT1_SD_SA_PKT3_PKT4_S8_PT5_21rocsparse_index_base_b.num_vgpr, 26
	.set _ZN9rocsparseL18bsrxmvn_5x5_kernelILj50E21rocsparse_complex_numIdEiiS1_IfES2_S2_EEvT2_20rocsparse_direction_NS_24const_host_device_scalarIT0_EES4_PKS4_PKT1_SD_SA_PKT3_PKT4_S8_PT5_21rocsparse_index_base_b.num_agpr, 0
	.set _ZN9rocsparseL18bsrxmvn_5x5_kernelILj50E21rocsparse_complex_numIdEiiS1_IfES2_S2_EEvT2_20rocsparse_direction_NS_24const_host_device_scalarIT0_EES4_PKS4_PKT1_SD_SA_PKT3_PKT4_S8_PT5_21rocsparse_index_base_b.numbered_sgpr, 15
	.set _ZN9rocsparseL18bsrxmvn_5x5_kernelILj50E21rocsparse_complex_numIdEiiS1_IfES2_S2_EEvT2_20rocsparse_direction_NS_24const_host_device_scalarIT0_EES4_PKS4_PKT1_SD_SA_PKT3_PKT4_S8_PT5_21rocsparse_index_base_b.num_named_barrier, 0
	.set _ZN9rocsparseL18bsrxmvn_5x5_kernelILj50E21rocsparse_complex_numIdEiiS1_IfES2_S2_EEvT2_20rocsparse_direction_NS_24const_host_device_scalarIT0_EES4_PKS4_PKT1_SD_SA_PKT3_PKT4_S8_PT5_21rocsparse_index_base_b.private_seg_size, 0
	.set _ZN9rocsparseL18bsrxmvn_5x5_kernelILj50E21rocsparse_complex_numIdEiiS1_IfES2_S2_EEvT2_20rocsparse_direction_NS_24const_host_device_scalarIT0_EES4_PKS4_PKT1_SD_SA_PKT3_PKT4_S8_PT5_21rocsparse_index_base_b.uses_vcc, 1
	.set _ZN9rocsparseL18bsrxmvn_5x5_kernelILj50E21rocsparse_complex_numIdEiiS1_IfES2_S2_EEvT2_20rocsparse_direction_NS_24const_host_device_scalarIT0_EES4_PKS4_PKT1_SD_SA_PKT3_PKT4_S8_PT5_21rocsparse_index_base_b.uses_flat_scratch, 0
	.set _ZN9rocsparseL18bsrxmvn_5x5_kernelILj50E21rocsparse_complex_numIdEiiS1_IfES2_S2_EEvT2_20rocsparse_direction_NS_24const_host_device_scalarIT0_EES4_PKS4_PKT1_SD_SA_PKT3_PKT4_S8_PT5_21rocsparse_index_base_b.has_dyn_sized_stack, 0
	.set _ZN9rocsparseL18bsrxmvn_5x5_kernelILj50E21rocsparse_complex_numIdEiiS1_IfES2_S2_EEvT2_20rocsparse_direction_NS_24const_host_device_scalarIT0_EES4_PKS4_PKT1_SD_SA_PKT3_PKT4_S8_PT5_21rocsparse_index_base_b.has_recursion, 0
	.set _ZN9rocsparseL18bsrxmvn_5x5_kernelILj50E21rocsparse_complex_numIdEiiS1_IfES2_S2_EEvT2_20rocsparse_direction_NS_24const_host_device_scalarIT0_EES4_PKS4_PKT1_SD_SA_PKT3_PKT4_S8_PT5_21rocsparse_index_base_b.has_indirect_call, 0
	.section	.AMDGPU.csdata,"",@progbits
; Kernel info:
; codeLenInByte = 1576
; TotalNumSgprs: 17
; NumVgprs: 26
; ScratchSize: 0
; MemoryBound: 0
; FloatMode: 240
; IeeeMode: 1
; LDSByteSize: 800 bytes/workgroup (compile time only)
; SGPRBlocks: 0
; VGPRBlocks: 3
; NumSGPRsForWavesPerEU: 17
; NumVGPRsForWavesPerEU: 26
; Occupancy: 16
; WaveLimiterHint : 1
; COMPUTE_PGM_RSRC2:SCRATCH_EN: 0
; COMPUTE_PGM_RSRC2:USER_SGPR: 6
; COMPUTE_PGM_RSRC2:TRAP_HANDLER: 0
; COMPUTE_PGM_RSRC2:TGID_X_EN: 1
; COMPUTE_PGM_RSRC2:TGID_Y_EN: 0
; COMPUTE_PGM_RSRC2:TGID_Z_EN: 0
; COMPUTE_PGM_RSRC2:TIDIG_COMP_CNT: 0
	.section	.text._ZN9rocsparseL18bsrxmvn_5x5_kernelILj50E21rocsparse_complex_numIdEliS1_IfES2_S2_EEvT2_20rocsparse_direction_NS_24const_host_device_scalarIT0_EES4_PKS4_PKT1_SD_SA_PKT3_PKT4_S8_PT5_21rocsparse_index_base_b,"axG",@progbits,_ZN9rocsparseL18bsrxmvn_5x5_kernelILj50E21rocsparse_complex_numIdEliS1_IfES2_S2_EEvT2_20rocsparse_direction_NS_24const_host_device_scalarIT0_EES4_PKS4_PKT1_SD_SA_PKT3_PKT4_S8_PT5_21rocsparse_index_base_b,comdat
	.globl	_ZN9rocsparseL18bsrxmvn_5x5_kernelILj50E21rocsparse_complex_numIdEliS1_IfES2_S2_EEvT2_20rocsparse_direction_NS_24const_host_device_scalarIT0_EES4_PKS4_PKT1_SD_SA_PKT3_PKT4_S8_PT5_21rocsparse_index_base_b ; -- Begin function _ZN9rocsparseL18bsrxmvn_5x5_kernelILj50E21rocsparse_complex_numIdEliS1_IfES2_S2_EEvT2_20rocsparse_direction_NS_24const_host_device_scalarIT0_EES4_PKS4_PKT1_SD_SA_PKT3_PKT4_S8_PT5_21rocsparse_index_base_b
	.p2align	8
	.type	_ZN9rocsparseL18bsrxmvn_5x5_kernelILj50E21rocsparse_complex_numIdEliS1_IfES2_S2_EEvT2_20rocsparse_direction_NS_24const_host_device_scalarIT0_EES4_PKS4_PKT1_SD_SA_PKT3_PKT4_S8_PT5_21rocsparse_index_base_b,@function
_ZN9rocsparseL18bsrxmvn_5x5_kernelILj50E21rocsparse_complex_numIdEliS1_IfES2_S2_EEvT2_20rocsparse_direction_NS_24const_host_device_scalarIT0_EES4_PKS4_PKT1_SD_SA_PKT3_PKT4_S8_PT5_21rocsparse_index_base_b: ; @_ZN9rocsparseL18bsrxmvn_5x5_kernelILj50E21rocsparse_complex_numIdEliS1_IfES2_S2_EEvT2_20rocsparse_direction_NS_24const_host_device_scalarIT0_EES4_PKS4_PKT1_SD_SA_PKT3_PKT4_S8_PT5_21rocsparse_index_base_b
; %bb.0:
	s_clause 0x1
	s_load_dwordx2 s[8:9], s[4:5], 0x68
	s_load_dwordx2 s[0:1], s[4:5], 0x8
	s_add_u32 s7, s4, 8
	s_addc_u32 s10, s5, 0
	s_add_u32 s11, s4, 0x50
	s_addc_u32 s12, s5, 0
	s_load_dwordx2 s[2:3], s[4:5], 0x50
	s_waitcnt lgkmcnt(0)
	s_bitcmp1_b32 s9, 0
	s_cselect_b32 s0, s7, s0
	s_cselect_b32 s1, s10, s1
	v_mov_b32_e32 v1, s0
	v_mov_b32_e32 v2, s1
	s_cselect_b32 s0, s11, s2
	s_cselect_b32 s1, s12, s3
	flat_load_dwordx4 v[5:8], v[1:2]
	v_mov_b32_e32 v1, s0
	v_mov_b32_e32 v2, s1
	flat_load_dwordx4 v[1:4], v[1:2]
	s_waitcnt vmcnt(1) lgkmcnt(1)
	v_cmp_eq_f64_e32 vcc_lo, 0, v[5:6]
	v_cmp_eq_f64_e64 s0, 0, v[7:8]
	s_and_b32 s2, vcc_lo, s0
	s_mov_b32 s0, -1
	s_and_saveexec_b32 s1, s2
	s_cbranch_execz .LBB40_2
; %bb.1:
	s_waitcnt vmcnt(0) lgkmcnt(0)
	v_cmp_neq_f64_e32 vcc_lo, 1.0, v[1:2]
	v_cmp_neq_f64_e64 s0, 0, v[3:4]
	s_or_b32 s0, vcc_lo, s0
	s_orn2_b32 s0, s0, exec_lo
.LBB40_2:
	s_or_b32 exec_lo, exec_lo, s1
	s_and_saveexec_b32 s1, s0
	s_cbranch_execz .LBB40_35
; %bb.3:
	s_clause 0x1
	s_load_dwordx4 s[0:3], s[4:5], 0x20
	s_load_dwordx2 s[10:11], s[4:5], 0x30
	s_waitcnt lgkmcnt(0)
	s_cmp_eq_u64 s[0:1], 0
	s_cbranch_scc1 .LBB40_5
; %bb.4:
	s_ashr_i32 s7, s6, 31
	s_lshl_b64 s[6:7], s[6:7], 2
	s_add_u32 s0, s0, s6
	s_addc_u32 s1, s1, s7
	s_load_dword s0, s[0:1], 0x0
	s_waitcnt lgkmcnt(0)
	s_sub_i32 s6, s0, s8
.LBB40_5:
	s_load_dword s1, s[4:5], 0x4
	v_mul_u32_u24_e32 v9, 0x3334, v0
	v_mov_b32_e32 v11, 0
	v_mov_b32_e32 v12, 0
	v_lshrrev_b32_e32 v13, 16, v9
	v_mul_lo_u16 v9, v13, 5
	v_sub_nc_u16 v18, v0, v9
	v_mov_b32_e32 v9, 0
	v_mov_b32_e32 v10, 0
	s_waitcnt lgkmcnt(0)
	s_cmp_eq_u32 s1, 1
	s_cselect_b32 s0, -1, 0
	s_cmp_lg_u32 s1, 1
	s_cselect_b32 s9, -1, 0
	s_ashr_i32 s7, s6, 31
	s_lshl_b64 s[12:13], s[6:7], 3
	s_add_u32 s2, s2, s12
	s_addc_u32 s3, s3, s13
	s_add_u32 s1, s2, 8
	s_addc_u32 s7, s3, 0
	;; [unrolled: 2-line block ×3, first 2 shown]
	s_cmp_eq_u64 s[10:11], 0
	s_cselect_b32 s11, s7, s13
	s_cselect_b32 s10, s1, s12
	s_load_dwordx2 s[12:13], s[2:3], 0x0
	s_load_dwordx2 s[14:15], s[10:11], 0x0
	;; [unrolled: 1-line block ×3, first 2 shown]
	s_waitcnt lgkmcnt(0)
	v_cmp_ge_i64_e64 s1, s[12:13], s[14:15]
	s_and_b32 vcc_lo, exec_lo, s1
	s_cbranch_vccnz .LBB40_10
; %bb.6:
	v_mul_lo_u16 v11, v13, 52
	v_mov_b32_e32 v12, 0xa3e
	v_mov_b32_e32 v10, 0
	v_lshlrev_b32_e32 v9, 3, v0
	s_clause 0x1
	s_load_dwordx2 s[10:11], s[4:5], 0x48
	s_load_dwordx4 s[16:19], s[4:5], 0x38
	v_lshrrev_b16 v11, 8, v11
	v_mul_u32_u24_sdwa v12, v0, v12 dst_sel:DWORD dst_unused:UNUSED_PAD src0_sel:WORD_0 src1_sel:DWORD
	s_mul_i32 s1, s8, 0xc8
	v_mad_u64_u32 v[9:10], null, 0xc8, s12, v[9:10]
	v_mul_lo_u16 v11, v11, 5
	v_lshrrev_b32_e32 v19, 16, v12
	s_mul_hi_u32 s5, s8, 0xc8
	v_and_b32_e32 v14, 0xffff, v18
	s_sub_u32 s4, s14, s8
	v_sub_nc_u16 v13, v13, v11
	v_mad_u64_u32 v[10:11], null, 0xc8, s13, v[10:11]
	v_add_co_u32 v11, s7, s12, v19
	v_add_co_ci_u32_e64 v12, null, s13, 0, s7
	v_sub_co_u32 v9, vcc_lo, v9, s1
	v_sub_co_u32 v11, s1, v11, s8
	v_subrev_co_ci_u32_e64 v12, null, 0, v12, s1
	v_and_b32_e32 v13, 0xff, v13
	v_or_b32_e32 v16, 4, v9
	v_subrev_co_ci_u32_e64 v15, null, s5, v10, vcc_lo
	v_lshlrev_b64 v[9:10], 2, v[11:12]
	v_mov_b32_e32 v11, 0
	v_cndmask_b32_e64 v13, v14, v13, s0
	v_mov_b32_e32 v12, 0
	s_waitcnt lgkmcnt(0)
	v_add_co_u32 v14, vcc_lo, s18, v16
	v_add_co_ci_u32_e64 v15, null, s19, v15, vcc_lo
	v_add_co_u32 v16, vcc_lo, s16, v9
	v_add_co_ci_u32_e64 v17, null, s17, v10, vcc_lo
	v_mov_b32_e32 v9, v11
	v_mov_b32_e32 v10, v12
	s_subb_u32 s5, s15, 0
	s_sub_u32 s0, s12, s8
	s_subb_u32 s1, s13, 0
	s_branch .LBB40_8
.LBB40_7:                               ;   in Loop: Header=BB40_8 Depth=1
	s_or_b32 exec_lo, exec_lo, s7
	s_add_u32 s0, s0, 2
	s_addc_u32 s1, s1, 0
	v_add_co_u32 v14, vcc_lo, 0x190, v14
	v_cmp_ge_i64_e64 s7, s[0:1], s[4:5]
	v_add_co_ci_u32_e64 v15, null, 0, v15, vcc_lo
	v_add_co_u32 v16, vcc_lo, v16, 8
	v_add_co_ci_u32_e64 v17, null, 0, v17, vcc_lo
	s_and_b32 vcc_lo, exec_lo, s7
	s_cbranch_vccnz .LBB40_10
.LBB40_8:                               ; =>This Inner Loop Header: Depth=1
	v_add_co_u32 v20, s7, v19, s0
	v_add_co_ci_u32_e64 v21, null, 0, s1, s7
	s_mov_b32 s7, exec_lo
	v_cmpx_gt_i64_e64 s[4:5], v[20:21]
	s_cbranch_execz .LBB40_7
; %bb.9:                                ;   in Loop: Header=BB40_8 Depth=1
	global_load_dword v20, v[16:17], off
	global_load_dwordx2 v[24:25], v[14:15], off offset:-4
	s_waitcnt vmcnt(1)
	v_subrev_nc_u32_e32 v20, s8, v20
	s_waitcnt vmcnt(0)
	v_cvt_f64_f32_e32 v[26:27], v24
	v_cvt_f64_f32_e32 v[24:25], v25
	v_mad_u64_u32 v[20:21], null, v20, 5, v[13:14]
	v_ashrrev_i32_e32 v21, 31, v20
	v_lshlrev_b64 v[20:21], 4, v[20:21]
	v_add_co_u32 v20, vcc_lo, s10, v20
	v_add_co_ci_u32_e64 v21, null, s11, v21, vcc_lo
	global_load_dwordx4 v[20:23], v[20:21], off
	s_waitcnt vmcnt(0)
	v_fma_f64 v[9:10], v[26:27], v[20:21], v[9:10]
	v_fma_f64 v[11:12], v[24:25], v[20:21], v[11:12]
	v_fma_f64 v[9:10], -v[24:25], v[22:23], v[9:10]
	v_fma_f64 v[11:12], v[26:27], v[22:23], v[11:12]
	s_branch .LBB40_7
.LBB40_10:
	v_lshlrev_b32_e32 v17, 4, v0
	s_and_b32 vcc_lo, exec_lo, s9
	ds_write_b128 v17, v[9:12]
	s_waitcnt vmcnt(0) lgkmcnt(0)
	buffer_gl0_inv
	s_cbranch_vccz .LBB40_20
; %bb.11:
	s_mov_b32 s0, exec_lo
	v_cmpx_gt_u32_e32 25, v0
	s_cbranch_execz .LBB40_13
; %bb.12:
	ds_read_b128 v[13:16], v17 offset:400
	ds_read_b128 v[19:22], v17
	s_waitcnt lgkmcnt(0)
	v_add_f64 v[13:14], v[13:14], v[19:20]
	v_add_f64 v[15:16], v[15:16], v[21:22]
	ds_write_b128 v17, v[13:16]
.LBB40_13:
	s_or_b32 exec_lo, exec_lo, s0
	s_mov_b32 s0, exec_lo
	s_waitcnt lgkmcnt(0)
	buffer_gl0_inv
	v_cmpx_eq_u16_e32 0, v18
	s_cbranch_execz .LBB40_15
; %bb.14:
	ds_read_b128 v[13:16], v17 offset:64
	ds_read_b128 v[19:22], v17
	s_waitcnt lgkmcnt(0)
	v_add_f64 v[13:14], v[13:14], v[19:20]
	v_add_f64 v[15:16], v[15:16], v[21:22]
	ds_write_b128 v17, v[13:16]
.LBB40_15:
	s_or_b32 exec_lo, exec_lo, s0
	s_mov_b32 s0, exec_lo
	s_waitcnt lgkmcnt(0)
	buffer_gl0_inv
	v_cmpx_gt_u16_e32 2, v18
	s_cbranch_execz .LBB40_17
; %bb.16:
	ds_read_b128 v[13:16], v17
	ds_read_b128 v[18:21], v17 offset:32
	s_waitcnt lgkmcnt(0)
	v_add_f64 v[13:14], v[18:19], v[13:14]
	v_add_f64 v[15:16], v[20:21], v[15:16]
	ds_write_b128 v17, v[13:16]
.LBB40_17:
	s_or_b32 exec_lo, exec_lo, s0
	v_mov_b32_e32 v16, v12
	v_mov_b32_e32 v14, v10
	;; [unrolled: 1-line block ×4, first 2 shown]
	s_mov_b32 s0, exec_lo
	s_waitcnt lgkmcnt(0)
	buffer_gl0_inv
	v_cmpx_gt_u32_e32 5, v0
	s_cbranch_execz .LBB40_19
; %bb.18:
	v_lshl_add_u32 v18, v0, 6, v17
	ds_read_b128 v[13:16], v18
	ds_read_b128 v[18:21], v18 offset:16
	s_waitcnt lgkmcnt(0)
	v_add_f64 v[13:14], v[18:19], v[13:14]
	v_add_f64 v[15:16], v[20:21], v[15:16]
.LBB40_19:
	s_or_b32 exec_lo, exec_lo, s0
	s_branch .LBB40_30
.LBB40_20:
                                        ; implicit-def: $vgpr15_vgpr16
                                        ; implicit-def: $vgpr13_vgpr14
	s_cbranch_execz .LBB40_30
; %bb.21:
	v_cmp_gt_u32_e32 vcc_lo, 10, v0
	s_and_saveexec_b32 s0, vcc_lo
	s_cbranch_execz .LBB40_23
; %bb.22:
	ds_read_b128 v[13:16], v17 offset:640
	ds_read_b128 v[18:21], v17
	s_waitcnt lgkmcnt(0)
	v_add_f64 v[13:14], v[13:14], v[18:19]
	v_add_f64 v[15:16], v[15:16], v[20:21]
	ds_write_b128 v17, v[13:16]
.LBB40_23:
	s_or_b32 exec_lo, exec_lo, s0
	s_mov_b32 s1, exec_lo
	s_waitcnt lgkmcnt(0)
	buffer_gl0_inv
	v_cmpx_gt_u32_e32 20, v0
	s_cbranch_execz .LBB40_25
; %bb.24:
	ds_read_b128 v[13:16], v17 offset:320
	ds_read_b128 v[18:21], v17
	s_waitcnt lgkmcnt(0)
	v_add_f64 v[13:14], v[13:14], v[18:19]
	v_add_f64 v[15:16], v[15:16], v[20:21]
	ds_write_b128 v17, v[13:16]
.LBB40_25:
	s_or_b32 exec_lo, exec_lo, s1
	s_waitcnt lgkmcnt(0)
	buffer_gl0_inv
	s_and_saveexec_b32 s0, vcc_lo
	s_cbranch_execz .LBB40_27
; %bb.26:
	ds_read_b128 v[13:16], v17 offset:160
	ds_read_b128 v[18:21], v17
	s_waitcnt lgkmcnt(0)
	v_add_f64 v[13:14], v[13:14], v[18:19]
	v_add_f64 v[15:16], v[15:16], v[20:21]
	ds_write_b128 v17, v[13:16]
.LBB40_27:
	s_or_b32 exec_lo, exec_lo, s0
	s_mov_b32 s0, exec_lo
	s_waitcnt lgkmcnt(0)
	buffer_gl0_inv
	v_cmpx_gt_u32_e32 5, v0
	s_cbranch_execz .LBB40_29
; %bb.28:
	ds_read_b128 v[9:12], v17 offset:80
	ds_read_b128 v[13:16], v17
	s_waitcnt lgkmcnt(0)
	v_add_f64 v[9:10], v[9:10], v[13:14]
	v_add_f64 v[11:12], v[11:12], v[15:16]
.LBB40_29:
	s_or_b32 exec_lo, exec_lo, s0
	v_mov_b32_e32 v16, v12
	v_mov_b32_e32 v14, v10
	;; [unrolled: 1-line block ×4, first 2 shown]
.LBB40_30:
	v_cmp_gt_u32_e32 vcc_lo, 5, v0
	s_and_b32 exec_lo, exec_lo, vcc_lo
	s_cbranch_execz .LBB40_35
; %bb.31:
	v_mul_f64 v[9:10], v[15:16], -v[7:8]
	v_mul_f64 v[11:12], v[5:6], v[15:16]
	v_cmp_eq_f64_e32 vcc_lo, 0, v[1:2]
	v_cmp_eq_f64_e64 s0, 0, v[3:4]
	v_fma_f64 v[5:6], v[5:6], v[13:14], v[9:10]
	v_fma_f64 v[7:8], v[7:8], v[13:14], v[11:12]
	s_and_b32 s0, vcc_lo, s0
	s_and_saveexec_b32 s1, s0
	s_xor_b32 s0, exec_lo, s1
	s_cbranch_execz .LBB40_33
; %bb.32:
	v_mad_u64_u32 v[0:1], null, s6, 5, v[0:1]
	v_mov_b32_e32 v1, 0
	v_lshlrev_b64 v[0:1], 4, v[0:1]
	v_add_co_u32 v0, vcc_lo, s2, v0
	v_add_co_ci_u32_e64 v1, null, s3, v1, vcc_lo
	global_store_dwordx4 v[0:1], v[5:8], off
                                        ; implicit-def: $vgpr0
                                        ; implicit-def: $vgpr1_vgpr2
                                        ; implicit-def: $vgpr5_vgpr6
.LBB40_33:
	s_andn2_saveexec_b32 s0, s0
	s_cbranch_execz .LBB40_35
; %bb.34:
	v_mad_u64_u32 v[9:10], null, s6, 5, v[0:1]
	v_mov_b32_e32 v10, 0
	v_lshlrev_b64 v[9:10], 4, v[9:10]
	v_add_co_u32 v13, vcc_lo, s2, v9
	v_add_co_ci_u32_e64 v14, null, s3, v10, vcc_lo
	global_load_dwordx4 v[9:12], v[13:14], off
	s_waitcnt vmcnt(0)
	v_fma_f64 v[5:6], v[1:2], v[9:10], v[5:6]
	v_fma_f64 v[7:8], v[3:4], v[9:10], v[7:8]
	v_fma_f64 v[3:4], -v[3:4], v[11:12], v[5:6]
	v_fma_f64 v[5:6], v[1:2], v[11:12], v[7:8]
	global_store_dwordx4 v[13:14], v[3:6], off
.LBB40_35:
	s_endpgm
	.section	.rodata,"a",@progbits
	.p2align	6, 0x0
	.amdhsa_kernel _ZN9rocsparseL18bsrxmvn_5x5_kernelILj50E21rocsparse_complex_numIdEliS1_IfES2_S2_EEvT2_20rocsparse_direction_NS_24const_host_device_scalarIT0_EES4_PKS4_PKT1_SD_SA_PKT3_PKT4_S8_PT5_21rocsparse_index_base_b
		.amdhsa_group_segment_fixed_size 800
		.amdhsa_private_segment_fixed_size 0
		.amdhsa_kernarg_size 112
		.amdhsa_user_sgpr_count 6
		.amdhsa_user_sgpr_private_segment_buffer 1
		.amdhsa_user_sgpr_dispatch_ptr 0
		.amdhsa_user_sgpr_queue_ptr 0
		.amdhsa_user_sgpr_kernarg_segment_ptr 1
		.amdhsa_user_sgpr_dispatch_id 0
		.amdhsa_user_sgpr_flat_scratch_init 0
		.amdhsa_user_sgpr_private_segment_size 0
		.amdhsa_wavefront_size32 1
		.amdhsa_uses_dynamic_stack 0
		.amdhsa_system_sgpr_private_segment_wavefront_offset 0
		.amdhsa_system_sgpr_workgroup_id_x 1
		.amdhsa_system_sgpr_workgroup_id_y 0
		.amdhsa_system_sgpr_workgroup_id_z 0
		.amdhsa_system_sgpr_workgroup_info 0
		.amdhsa_system_vgpr_workitem_id 0
		.amdhsa_next_free_vgpr 28
		.amdhsa_next_free_sgpr 20
		.amdhsa_reserve_vcc 1
		.amdhsa_reserve_flat_scratch 0
		.amdhsa_float_round_mode_32 0
		.amdhsa_float_round_mode_16_64 0
		.amdhsa_float_denorm_mode_32 3
		.amdhsa_float_denorm_mode_16_64 3
		.amdhsa_dx10_clamp 1
		.amdhsa_ieee_mode 1
		.amdhsa_fp16_overflow 0
		.amdhsa_workgroup_processor_mode 1
		.amdhsa_memory_ordered 1
		.amdhsa_forward_progress 1
		.amdhsa_shared_vgpr_count 0
		.amdhsa_exception_fp_ieee_invalid_op 0
		.amdhsa_exception_fp_denorm_src 0
		.amdhsa_exception_fp_ieee_div_zero 0
		.amdhsa_exception_fp_ieee_overflow 0
		.amdhsa_exception_fp_ieee_underflow 0
		.amdhsa_exception_fp_ieee_inexact 0
		.amdhsa_exception_int_div_zero 0
	.end_amdhsa_kernel
	.section	.text._ZN9rocsparseL18bsrxmvn_5x5_kernelILj50E21rocsparse_complex_numIdEliS1_IfES2_S2_EEvT2_20rocsparse_direction_NS_24const_host_device_scalarIT0_EES4_PKS4_PKT1_SD_SA_PKT3_PKT4_S8_PT5_21rocsparse_index_base_b,"axG",@progbits,_ZN9rocsparseL18bsrxmvn_5x5_kernelILj50E21rocsparse_complex_numIdEliS1_IfES2_S2_EEvT2_20rocsparse_direction_NS_24const_host_device_scalarIT0_EES4_PKS4_PKT1_SD_SA_PKT3_PKT4_S8_PT5_21rocsparse_index_base_b,comdat
.Lfunc_end40:
	.size	_ZN9rocsparseL18bsrxmvn_5x5_kernelILj50E21rocsparse_complex_numIdEliS1_IfES2_S2_EEvT2_20rocsparse_direction_NS_24const_host_device_scalarIT0_EES4_PKS4_PKT1_SD_SA_PKT3_PKT4_S8_PT5_21rocsparse_index_base_b, .Lfunc_end40-_ZN9rocsparseL18bsrxmvn_5x5_kernelILj50E21rocsparse_complex_numIdEliS1_IfES2_S2_EEvT2_20rocsparse_direction_NS_24const_host_device_scalarIT0_EES4_PKS4_PKT1_SD_SA_PKT3_PKT4_S8_PT5_21rocsparse_index_base_b
                                        ; -- End function
	.set _ZN9rocsparseL18bsrxmvn_5x5_kernelILj50E21rocsparse_complex_numIdEliS1_IfES2_S2_EEvT2_20rocsparse_direction_NS_24const_host_device_scalarIT0_EES4_PKS4_PKT1_SD_SA_PKT3_PKT4_S8_PT5_21rocsparse_index_base_b.num_vgpr, 28
	.set _ZN9rocsparseL18bsrxmvn_5x5_kernelILj50E21rocsparse_complex_numIdEliS1_IfES2_S2_EEvT2_20rocsparse_direction_NS_24const_host_device_scalarIT0_EES4_PKS4_PKT1_SD_SA_PKT3_PKT4_S8_PT5_21rocsparse_index_base_b.num_agpr, 0
	.set _ZN9rocsparseL18bsrxmvn_5x5_kernelILj50E21rocsparse_complex_numIdEliS1_IfES2_S2_EEvT2_20rocsparse_direction_NS_24const_host_device_scalarIT0_EES4_PKS4_PKT1_SD_SA_PKT3_PKT4_S8_PT5_21rocsparse_index_base_b.numbered_sgpr, 20
	.set _ZN9rocsparseL18bsrxmvn_5x5_kernelILj50E21rocsparse_complex_numIdEliS1_IfES2_S2_EEvT2_20rocsparse_direction_NS_24const_host_device_scalarIT0_EES4_PKS4_PKT1_SD_SA_PKT3_PKT4_S8_PT5_21rocsparse_index_base_b.num_named_barrier, 0
	.set _ZN9rocsparseL18bsrxmvn_5x5_kernelILj50E21rocsparse_complex_numIdEliS1_IfES2_S2_EEvT2_20rocsparse_direction_NS_24const_host_device_scalarIT0_EES4_PKS4_PKT1_SD_SA_PKT3_PKT4_S8_PT5_21rocsparse_index_base_b.private_seg_size, 0
	.set _ZN9rocsparseL18bsrxmvn_5x5_kernelILj50E21rocsparse_complex_numIdEliS1_IfES2_S2_EEvT2_20rocsparse_direction_NS_24const_host_device_scalarIT0_EES4_PKS4_PKT1_SD_SA_PKT3_PKT4_S8_PT5_21rocsparse_index_base_b.uses_vcc, 1
	.set _ZN9rocsparseL18bsrxmvn_5x5_kernelILj50E21rocsparse_complex_numIdEliS1_IfES2_S2_EEvT2_20rocsparse_direction_NS_24const_host_device_scalarIT0_EES4_PKS4_PKT1_SD_SA_PKT3_PKT4_S8_PT5_21rocsparse_index_base_b.uses_flat_scratch, 0
	.set _ZN9rocsparseL18bsrxmvn_5x5_kernelILj50E21rocsparse_complex_numIdEliS1_IfES2_S2_EEvT2_20rocsparse_direction_NS_24const_host_device_scalarIT0_EES4_PKS4_PKT1_SD_SA_PKT3_PKT4_S8_PT5_21rocsparse_index_base_b.has_dyn_sized_stack, 0
	.set _ZN9rocsparseL18bsrxmvn_5x5_kernelILj50E21rocsparse_complex_numIdEliS1_IfES2_S2_EEvT2_20rocsparse_direction_NS_24const_host_device_scalarIT0_EES4_PKS4_PKT1_SD_SA_PKT3_PKT4_S8_PT5_21rocsparse_index_base_b.has_recursion, 0
	.set _ZN9rocsparseL18bsrxmvn_5x5_kernelILj50E21rocsparse_complex_numIdEliS1_IfES2_S2_EEvT2_20rocsparse_direction_NS_24const_host_device_scalarIT0_EES4_PKS4_PKT1_SD_SA_PKT3_PKT4_S8_PT5_21rocsparse_index_base_b.has_indirect_call, 0
	.section	.AMDGPU.csdata,"",@progbits
; Kernel info:
; codeLenInByte = 1716
; TotalNumSgprs: 22
; NumVgprs: 28
; ScratchSize: 0
; MemoryBound: 0
; FloatMode: 240
; IeeeMode: 1
; LDSByteSize: 800 bytes/workgroup (compile time only)
; SGPRBlocks: 0
; VGPRBlocks: 3
; NumSGPRsForWavesPerEU: 22
; NumVGPRsForWavesPerEU: 28
; Occupancy: 16
; WaveLimiterHint : 1
; COMPUTE_PGM_RSRC2:SCRATCH_EN: 0
; COMPUTE_PGM_RSRC2:USER_SGPR: 6
; COMPUTE_PGM_RSRC2:TRAP_HANDLER: 0
; COMPUTE_PGM_RSRC2:TGID_X_EN: 1
; COMPUTE_PGM_RSRC2:TGID_Y_EN: 0
; COMPUTE_PGM_RSRC2:TGID_Z_EN: 0
; COMPUTE_PGM_RSRC2:TIDIG_COMP_CNT: 0
	.section	.text._ZN9rocsparseL18bsrxmvn_5x5_kernelILj50E21rocsparse_complex_numIdEllS1_IfES2_S2_EEvT2_20rocsparse_direction_NS_24const_host_device_scalarIT0_EES4_PKS4_PKT1_SD_SA_PKT3_PKT4_S8_PT5_21rocsparse_index_base_b,"axG",@progbits,_ZN9rocsparseL18bsrxmvn_5x5_kernelILj50E21rocsparse_complex_numIdEllS1_IfES2_S2_EEvT2_20rocsparse_direction_NS_24const_host_device_scalarIT0_EES4_PKS4_PKT1_SD_SA_PKT3_PKT4_S8_PT5_21rocsparse_index_base_b,comdat
	.globl	_ZN9rocsparseL18bsrxmvn_5x5_kernelILj50E21rocsparse_complex_numIdEllS1_IfES2_S2_EEvT2_20rocsparse_direction_NS_24const_host_device_scalarIT0_EES4_PKS4_PKT1_SD_SA_PKT3_PKT4_S8_PT5_21rocsparse_index_base_b ; -- Begin function _ZN9rocsparseL18bsrxmvn_5x5_kernelILj50E21rocsparse_complex_numIdEllS1_IfES2_S2_EEvT2_20rocsparse_direction_NS_24const_host_device_scalarIT0_EES4_PKS4_PKT1_SD_SA_PKT3_PKT4_S8_PT5_21rocsparse_index_base_b
	.p2align	8
	.type	_ZN9rocsparseL18bsrxmvn_5x5_kernelILj50E21rocsparse_complex_numIdEllS1_IfES2_S2_EEvT2_20rocsparse_direction_NS_24const_host_device_scalarIT0_EES4_PKS4_PKT1_SD_SA_PKT3_PKT4_S8_PT5_21rocsparse_index_base_b,@function
_ZN9rocsparseL18bsrxmvn_5x5_kernelILj50E21rocsparse_complex_numIdEllS1_IfES2_S2_EEvT2_20rocsparse_direction_NS_24const_host_device_scalarIT0_EES4_PKS4_PKT1_SD_SA_PKT3_PKT4_S8_PT5_21rocsparse_index_base_b: ; @_ZN9rocsparseL18bsrxmvn_5x5_kernelILj50E21rocsparse_complex_numIdEllS1_IfES2_S2_EEvT2_20rocsparse_direction_NS_24const_host_device_scalarIT0_EES4_PKS4_PKT1_SD_SA_PKT3_PKT4_S8_PT5_21rocsparse_index_base_b
; %bb.0:
	s_clause 0x1
	s_load_dwordx2 s[8:9], s[4:5], 0x70
	s_load_dwordx2 s[0:1], s[4:5], 0x10
	s_add_u32 s7, s4, 16
	s_addc_u32 s10, s5, 0
	s_add_u32 s11, s4, 0x58
	s_addc_u32 s12, s5, 0
	s_load_dwordx2 s[2:3], s[4:5], 0x58
	s_waitcnt lgkmcnt(0)
	s_bitcmp1_b32 s9, 0
	s_cselect_b32 s0, s7, s0
	s_cselect_b32 s1, s10, s1
	v_mov_b32_e32 v1, s0
	v_mov_b32_e32 v2, s1
	s_cselect_b32 s0, s11, s2
	s_cselect_b32 s1, s12, s3
	flat_load_dwordx4 v[6:9], v[1:2]
	v_mov_b32_e32 v1, s0
	v_mov_b32_e32 v2, s1
	flat_load_dwordx4 v[2:5], v[1:2]
	s_waitcnt vmcnt(1) lgkmcnt(1)
	v_cmp_eq_f64_e32 vcc_lo, 0, v[6:7]
	v_cmp_eq_f64_e64 s0, 0, v[8:9]
	s_and_b32 s2, vcc_lo, s0
	s_mov_b32 s0, -1
	s_and_saveexec_b32 s1, s2
	s_cbranch_execz .LBB41_2
; %bb.1:
	s_waitcnt vmcnt(0) lgkmcnt(0)
	v_cmp_neq_f64_e32 vcc_lo, 1.0, v[2:3]
	v_cmp_neq_f64_e64 s0, 0, v[4:5]
	s_or_b32 s0, vcc_lo, s0
	s_orn2_b32 s0, s0, exec_lo
.LBB41_2:
	s_or_b32 exec_lo, exec_lo, s1
	s_and_saveexec_b32 s1, s0
	s_cbranch_execz .LBB41_38
; %bb.3:
	s_clause 0x1
	s_load_dwordx4 s[0:3], s[4:5], 0x28
	s_load_dwordx2 s[10:11], s[4:5], 0x38
	s_mov_b32 s7, 0
	s_waitcnt lgkmcnt(0)
	s_cmp_eq_u64 s[0:1], 0
	s_cbranch_scc1 .LBB41_5
; %bb.4:
	s_lshl_b64 s[6:7], s[6:7], 3
	s_add_u32 s0, s0, s6
	s_addc_u32 s1, s1, s7
	s_load_dwordx2 s[0:1], s[0:1], 0x0
	s_waitcnt lgkmcnt(0)
	s_sub_u32 s6, s0, s8
	s_subb_u32 s7, s1, 0
.LBB41_5:
	s_load_dword s1, s[4:5], 0x8
	v_mul_u32_u24_e32 v1, 0x3334, v0
	v_lshrrev_b32_e32 v14, 16, v1
	v_mul_lo_u16 v15, v14, 5
	s_waitcnt lgkmcnt(0)
	s_cmp_eq_u32 s1, 1
	s_cselect_b32 s0, -1, 0
	s_cmp_lg_u32 s1, 1
	s_cselect_b32 s9, -1, 0
	s_lshl_b64 s[12:13], s[6:7], 3
	s_add_u32 s2, s2, s12
	s_addc_u32 s3, s3, s13
	s_add_u32 s1, s2, 8
	s_addc_u32 s14, s3, 0
	;; [unrolled: 2-line block ×3, first 2 shown]
	s_cmp_eq_u64 s[10:11], 0
	s_cselect_b32 s13, s14, s13
	s_cselect_b32 s12, s1, s12
	s_load_dwordx2 s[10:11], s[2:3], 0x0
	s_load_dwordx2 s[12:13], s[12:13], 0x0
	s_waitcnt lgkmcnt(0)
	v_cmp_lt_i64_e64 s1, s[10:11], s[12:13]
	s_and_b32 vcc_lo, exec_lo, s1
	s_cbranch_vccnz .LBB41_7
; %bb.6:
	v_mov_b32_e32 v1, 0
	s_mov_b32 s1, 0
	s_branch .LBB41_8
.LBB41_7:
	s_mov_b32 s1, -1
.LBB41_8:
	s_load_dwordx2 s[2:3], s[4:5], 0x68
	v_mov_b32_e32 v12, 0
	v_mov_b32_e32 v10, 0
	;; [unrolled: 1-line block ×4, first 2 shown]
	v_sub_nc_u16 v20, v0, v15
	s_andn2_b32 vcc_lo, exec_lo, s1
	s_cbranch_vccnz .LBB41_13
; %bb.9:
	v_mul_lo_u16 v10, v14, 52
	v_mov_b32_e32 v1, 0
	v_mov_b32_e32 v13, 0xa3e
	v_and_b32_e32 v15, 0xffff, v20
	s_clause 0x1
	s_load_dwordx2 s[14:15], s[4:5], 0x50
	s_load_dwordx4 s[16:19], s[4:5], 0x40
	v_lshrrev_b16 v12, 8, v10
	v_lshlrev_b32_e32 v10, 3, v0
	v_mov_b32_e32 v11, v1
	v_mul_u32_u24_sdwa v13, v0, v13 dst_sel:DWORD dst_unused:UNUSED_PAD src0_sel:WORD_0 src1_sel:DWORD
	s_mul_i32 s5, s8, 0xc8
	v_mul_lo_u16 v12, v12, 5
	s_mul_hi_u32 s1, s8, 0xc8
	v_mad_u64_u32 v[10:11], null, 0xc8, s10, v[10:11]
	v_lshrrev_b32_e32 v21, 16, v13
	v_sub_nc_u16 v12, v14, v12
	s_sub_u32 s4, s12, s8
	v_sub_co_u32 v10, vcc_lo, v10, s5
	v_and_b32_e32 v13, 0xff, v12
	v_mad_u64_u32 v[11:12], null, 0xc8, s11, v[11:12]
	v_or_b32_e32 v16, 4, v10
	s_subb_u32 s5, s13, 0
	v_cndmask_b32_e64 v12, v15, v13, s0
	v_add_co_u32 v13, s0, s10, v21
	v_add_co_ci_u32_e64 v14, null, s11, 0, s0
	v_subrev_co_ci_u32_e64 v17, null, s1, v11, vcc_lo
	v_sub_co_u32 v10, vcc_lo, v13, s8
	v_subrev_co_ci_u32_e64 v11, null, 0, v14, vcc_lo
	v_lshlrev_b32_e32 v12, 4, v12
	s_waitcnt lgkmcnt(0)
	v_add_co_u32 v16, vcc_lo, s18, v16
	v_lshlrev_b64 v[10:11], 3, v[10:11]
	v_add_co_ci_u32_e64 v17, null, s19, v17, vcc_lo
	v_add_co_u32 v14, s0, s14, v12
	v_mov_b32_e32 v12, 0
	v_mov_b32_e32 v13, 0
	v_add_co_u32 v18, vcc_lo, s16, v10
	v_add_co_ci_u32_e64 v19, null, s17, v11, vcc_lo
	v_mov_b32_e32 v10, v12
	v_add_co_ci_u32_e64 v15, null, s15, 0, s0
	v_mov_b32_e32 v11, v13
	s_sub_u32 s0, s10, s8
	s_subb_u32 s1, s11, 0
	s_branch .LBB41_11
.LBB41_10:                              ;   in Loop: Header=BB41_11 Depth=1
	s_or_b32 exec_lo, exec_lo, s10
	s_add_u32 s0, s0, 2
	s_addc_u32 s1, s1, 0
	v_add_co_u32 v16, vcc_lo, 0x190, v16
	v_cmp_ge_i64_e64 s10, s[0:1], s[4:5]
	v_add_co_ci_u32_e64 v17, null, 0, v17, vcc_lo
	v_add_co_u32 v18, vcc_lo, v18, 16
	v_add_co_ci_u32_e64 v19, null, 0, v19, vcc_lo
	s_and_b32 vcc_lo, exec_lo, s10
	s_cbranch_vccnz .LBB41_13
.LBB41_11:                              ; =>This Inner Loop Header: Depth=1
	v_add_co_u32 v22, s10, v21, s0
	v_add_co_ci_u32_e64 v23, null, 0, s1, s10
	s_mov_b32 s10, exec_lo
	v_cmpx_gt_i64_e64 s[4:5], v[22:23]
	s_cbranch_execz .LBB41_10
; %bb.12:                               ;   in Loop: Header=BB41_11 Depth=1
	global_load_dwordx2 v[22:23], v[18:19], off
	global_load_dwordx2 v[26:27], v[16:17], off offset:-4
	s_waitcnt vmcnt(1)
	v_sub_co_u32 v22, vcc_lo, v22, s8
	v_subrev_co_ci_u32_e64 v24, null, 0, v23, vcc_lo
	s_waitcnt vmcnt(0)
	v_cvt_f64_f32_e32 v[28:29], v26
	v_mad_u64_u32 v[22:23], null, 0x50, v22, v[14:15]
	v_cvt_f64_f32_e32 v[26:27], v27
	v_mad_u64_u32 v[23:24], null, 0x50, v24, v[23:24]
	global_load_dwordx4 v[22:25], v[22:23], off
	s_waitcnt vmcnt(0)
	v_fma_f64 v[10:11], v[28:29], v[22:23], v[10:11]
	v_fma_f64 v[12:13], v[26:27], v[22:23], v[12:13]
	v_fma_f64 v[10:11], -v[26:27], v[24:25], v[10:11]
	v_fma_f64 v[12:13], v[28:29], v[24:25], v[12:13]
	s_branch .LBB41_10
.LBB41_13:
	v_lshlrev_b32_e32 v18, 4, v0
	s_and_b32 vcc_lo, exec_lo, s9
	ds_write_b128 v18, v[10:13]
	s_waitcnt vmcnt(0) lgkmcnt(0)
	buffer_gl0_inv
	s_cbranch_vccz .LBB41_23
; %bb.14:
	s_mov_b32 s0, exec_lo
	v_cmpx_gt_u32_e32 25, v0
	s_cbranch_execz .LBB41_16
; %bb.15:
	ds_read_b128 v[14:17], v18 offset:400
	ds_read_b128 v[21:24], v18
	s_waitcnt lgkmcnt(0)
	v_add_f64 v[14:15], v[14:15], v[21:22]
	v_add_f64 v[16:17], v[16:17], v[23:24]
	ds_write_b128 v18, v[14:17]
.LBB41_16:
	s_or_b32 exec_lo, exec_lo, s0
	s_mov_b32 s0, exec_lo
	s_waitcnt lgkmcnt(0)
	buffer_gl0_inv
	v_cmpx_eq_u16_e32 0, v20
	s_cbranch_execz .LBB41_18
; %bb.17:
	ds_read_b128 v[14:17], v18 offset:64
	ds_read_b128 v[21:24], v18
	s_waitcnt lgkmcnt(0)
	v_add_f64 v[14:15], v[14:15], v[21:22]
	v_add_f64 v[16:17], v[16:17], v[23:24]
	ds_write_b128 v18, v[14:17]
.LBB41_18:
	s_or_b32 exec_lo, exec_lo, s0
	s_mov_b32 s0, exec_lo
	s_waitcnt lgkmcnt(0)
	buffer_gl0_inv
	v_cmpx_gt_u16_e32 2, v20
	s_cbranch_execz .LBB41_20
; %bb.19:
	ds_read_b128 v[14:17], v18
	ds_read_b128 v[19:22], v18 offset:32
	s_waitcnt lgkmcnt(0)
	v_add_f64 v[14:15], v[19:20], v[14:15]
	v_add_f64 v[16:17], v[21:22], v[16:17]
	ds_write_b128 v18, v[14:17]
.LBB41_20:
	s_or_b32 exec_lo, exec_lo, s0
	v_mov_b32_e32 v17, v13
	v_mov_b32_e32 v15, v11
	;; [unrolled: 1-line block ×4, first 2 shown]
	s_mov_b32 s0, exec_lo
	s_waitcnt lgkmcnt(0)
	buffer_gl0_inv
	v_cmpx_gt_u32_e32 5, v0
	s_cbranch_execz .LBB41_22
; %bb.21:
	v_lshl_add_u32 v19, v0, 6, v18
	ds_read_b128 v[14:17], v19
	ds_read_b128 v[19:22], v19 offset:16
	s_waitcnt lgkmcnt(0)
	v_add_f64 v[14:15], v[19:20], v[14:15]
	v_add_f64 v[16:17], v[21:22], v[16:17]
.LBB41_22:
	s_or_b32 exec_lo, exec_lo, s0
	s_branch .LBB41_33
.LBB41_23:
                                        ; implicit-def: $vgpr16_vgpr17
                                        ; implicit-def: $vgpr14_vgpr15
	s_cbranch_execz .LBB41_33
; %bb.24:
	v_cmp_gt_u32_e32 vcc_lo, 10, v0
	s_and_saveexec_b32 s0, vcc_lo
	s_cbranch_execz .LBB41_26
; %bb.25:
	ds_read_b128 v[14:17], v18 offset:640
	ds_read_b128 v[19:22], v18
	s_waitcnt lgkmcnt(0)
	v_add_f64 v[14:15], v[14:15], v[19:20]
	v_add_f64 v[16:17], v[16:17], v[21:22]
	ds_write_b128 v18, v[14:17]
.LBB41_26:
	s_or_b32 exec_lo, exec_lo, s0
	s_mov_b32 s1, exec_lo
	s_waitcnt lgkmcnt(0)
	buffer_gl0_inv
	v_cmpx_gt_u32_e32 20, v0
	s_cbranch_execz .LBB41_28
; %bb.27:
	ds_read_b128 v[14:17], v18 offset:320
	ds_read_b128 v[19:22], v18
	s_waitcnt lgkmcnt(0)
	v_add_f64 v[14:15], v[14:15], v[19:20]
	v_add_f64 v[16:17], v[16:17], v[21:22]
	ds_write_b128 v18, v[14:17]
.LBB41_28:
	s_or_b32 exec_lo, exec_lo, s1
	s_waitcnt lgkmcnt(0)
	buffer_gl0_inv
	s_and_saveexec_b32 s0, vcc_lo
	s_cbranch_execz .LBB41_30
; %bb.29:
	ds_read_b128 v[14:17], v18 offset:160
	ds_read_b128 v[19:22], v18
	s_waitcnt lgkmcnt(0)
	v_add_f64 v[14:15], v[14:15], v[19:20]
	v_add_f64 v[16:17], v[16:17], v[21:22]
	ds_write_b128 v18, v[14:17]
.LBB41_30:
	s_or_b32 exec_lo, exec_lo, s0
	s_mov_b32 s0, exec_lo
	s_waitcnt lgkmcnt(0)
	buffer_gl0_inv
	v_cmpx_gt_u32_e32 5, v0
	s_cbranch_execz .LBB41_32
; %bb.31:
	ds_read_b128 v[10:13], v18 offset:80
	ds_read_b128 v[14:17], v18
	s_waitcnt lgkmcnt(0)
	v_add_f64 v[10:11], v[10:11], v[14:15]
	v_add_f64 v[12:13], v[12:13], v[16:17]
.LBB41_32:
	s_or_b32 exec_lo, exec_lo, s0
	v_mov_b32_e32 v17, v13
	v_mov_b32_e32 v15, v11
	;; [unrolled: 1-line block ×4, first 2 shown]
.LBB41_33:
	v_cmp_gt_u32_e32 vcc_lo, 5, v0
	s_and_b32 exec_lo, exec_lo, vcc_lo
	s_cbranch_execz .LBB41_38
; %bb.34:
	v_mul_f64 v[10:11], v[16:17], -v[8:9]
	v_mul_f64 v[12:13], v[6:7], v[16:17]
	v_cmp_eq_f64_e32 vcc_lo, 0, v[2:3]
	v_cmp_eq_f64_e64 s0, 0, v[4:5]
	v_lshlrev_b64 v[0:1], 4, v[0:1]
	s_mul_hi_u32 s1, s6, 0x50
	s_mul_i32 s4, s6, 0x50
	v_fma_f64 v[6:7], v[6:7], v[14:15], v[10:11]
	v_fma_f64 v[8:9], v[8:9], v[14:15], v[12:13]
	s_and_b32 s5, vcc_lo, s0
	s_mul_i32 s0, s7, 0x50
	s_and_saveexec_b32 s6, s5
	s_xor_b32 s5, exec_lo, s6
	s_cbranch_execz .LBB41_36
; %bb.35:
	s_add_i32 s6, s1, s0
	s_add_u32 s7, s2, s4
	s_addc_u32 s6, s3, s6
	v_add_co_u32 v0, vcc_lo, s7, v0
	v_add_co_ci_u32_e64 v1, null, s6, v1, vcc_lo
                                        ; implicit-def: $vgpr2_vgpr3
	global_store_dwordx4 v[0:1], v[6:9], off
                                        ; implicit-def: $vgpr0_vgpr1
                                        ; implicit-def: $vgpr6_vgpr7
.LBB41_36:
	s_andn2_saveexec_b32 s5, s5
	s_cbranch_execz .LBB41_38
; %bb.37:
	s_add_i32 s1, s1, s0
	s_add_u32 s0, s2, s4
	s_addc_u32 s1, s3, s1
	v_add_co_u32 v14, vcc_lo, s0, v0
	v_add_co_ci_u32_e64 v15, null, s1, v1, vcc_lo
	global_load_dwordx4 v[10:13], v[14:15], off
	s_waitcnt vmcnt(0)
	v_fma_f64 v[0:1], v[2:3], v[10:11], v[6:7]
	v_fma_f64 v[6:7], v[4:5], v[10:11], v[8:9]
	v_fma_f64 v[0:1], -v[4:5], v[12:13], v[0:1]
	v_fma_f64 v[2:3], v[2:3], v[12:13], v[6:7]
	global_store_dwordx4 v[14:15], v[0:3], off
.LBB41_38:
	s_endpgm
	.section	.rodata,"a",@progbits
	.p2align	6, 0x0
	.amdhsa_kernel _ZN9rocsparseL18bsrxmvn_5x5_kernelILj50E21rocsparse_complex_numIdEllS1_IfES2_S2_EEvT2_20rocsparse_direction_NS_24const_host_device_scalarIT0_EES4_PKS4_PKT1_SD_SA_PKT3_PKT4_S8_PT5_21rocsparse_index_base_b
		.amdhsa_group_segment_fixed_size 800
		.amdhsa_private_segment_fixed_size 0
		.amdhsa_kernarg_size 120
		.amdhsa_user_sgpr_count 6
		.amdhsa_user_sgpr_private_segment_buffer 1
		.amdhsa_user_sgpr_dispatch_ptr 0
		.amdhsa_user_sgpr_queue_ptr 0
		.amdhsa_user_sgpr_kernarg_segment_ptr 1
		.amdhsa_user_sgpr_dispatch_id 0
		.amdhsa_user_sgpr_flat_scratch_init 0
		.amdhsa_user_sgpr_private_segment_size 0
		.amdhsa_wavefront_size32 1
		.amdhsa_uses_dynamic_stack 0
		.amdhsa_system_sgpr_private_segment_wavefront_offset 0
		.amdhsa_system_sgpr_workgroup_id_x 1
		.amdhsa_system_sgpr_workgroup_id_y 0
		.amdhsa_system_sgpr_workgroup_id_z 0
		.amdhsa_system_sgpr_workgroup_info 0
		.amdhsa_system_vgpr_workitem_id 0
		.amdhsa_next_free_vgpr 30
		.amdhsa_next_free_sgpr 20
		.amdhsa_reserve_vcc 1
		.amdhsa_reserve_flat_scratch 0
		.amdhsa_float_round_mode_32 0
		.amdhsa_float_round_mode_16_64 0
		.amdhsa_float_denorm_mode_32 3
		.amdhsa_float_denorm_mode_16_64 3
		.amdhsa_dx10_clamp 1
		.amdhsa_ieee_mode 1
		.amdhsa_fp16_overflow 0
		.amdhsa_workgroup_processor_mode 1
		.amdhsa_memory_ordered 1
		.amdhsa_forward_progress 1
		.amdhsa_shared_vgpr_count 0
		.amdhsa_exception_fp_ieee_invalid_op 0
		.amdhsa_exception_fp_denorm_src 0
		.amdhsa_exception_fp_ieee_div_zero 0
		.amdhsa_exception_fp_ieee_overflow 0
		.amdhsa_exception_fp_ieee_underflow 0
		.amdhsa_exception_fp_ieee_inexact 0
		.amdhsa_exception_int_div_zero 0
	.end_amdhsa_kernel
	.section	.text._ZN9rocsparseL18bsrxmvn_5x5_kernelILj50E21rocsparse_complex_numIdEllS1_IfES2_S2_EEvT2_20rocsparse_direction_NS_24const_host_device_scalarIT0_EES4_PKS4_PKT1_SD_SA_PKT3_PKT4_S8_PT5_21rocsparse_index_base_b,"axG",@progbits,_ZN9rocsparseL18bsrxmvn_5x5_kernelILj50E21rocsparse_complex_numIdEllS1_IfES2_S2_EEvT2_20rocsparse_direction_NS_24const_host_device_scalarIT0_EES4_PKS4_PKT1_SD_SA_PKT3_PKT4_S8_PT5_21rocsparse_index_base_b,comdat
.Lfunc_end41:
	.size	_ZN9rocsparseL18bsrxmvn_5x5_kernelILj50E21rocsparse_complex_numIdEllS1_IfES2_S2_EEvT2_20rocsparse_direction_NS_24const_host_device_scalarIT0_EES4_PKS4_PKT1_SD_SA_PKT3_PKT4_S8_PT5_21rocsparse_index_base_b, .Lfunc_end41-_ZN9rocsparseL18bsrxmvn_5x5_kernelILj50E21rocsparse_complex_numIdEllS1_IfES2_S2_EEvT2_20rocsparse_direction_NS_24const_host_device_scalarIT0_EES4_PKS4_PKT1_SD_SA_PKT3_PKT4_S8_PT5_21rocsparse_index_base_b
                                        ; -- End function
	.set _ZN9rocsparseL18bsrxmvn_5x5_kernelILj50E21rocsparse_complex_numIdEllS1_IfES2_S2_EEvT2_20rocsparse_direction_NS_24const_host_device_scalarIT0_EES4_PKS4_PKT1_SD_SA_PKT3_PKT4_S8_PT5_21rocsparse_index_base_b.num_vgpr, 30
	.set _ZN9rocsparseL18bsrxmvn_5x5_kernelILj50E21rocsparse_complex_numIdEllS1_IfES2_S2_EEvT2_20rocsparse_direction_NS_24const_host_device_scalarIT0_EES4_PKS4_PKT1_SD_SA_PKT3_PKT4_S8_PT5_21rocsparse_index_base_b.num_agpr, 0
	.set _ZN9rocsparseL18bsrxmvn_5x5_kernelILj50E21rocsparse_complex_numIdEllS1_IfES2_S2_EEvT2_20rocsparse_direction_NS_24const_host_device_scalarIT0_EES4_PKS4_PKT1_SD_SA_PKT3_PKT4_S8_PT5_21rocsparse_index_base_b.numbered_sgpr, 20
	.set _ZN9rocsparseL18bsrxmvn_5x5_kernelILj50E21rocsparse_complex_numIdEllS1_IfES2_S2_EEvT2_20rocsparse_direction_NS_24const_host_device_scalarIT0_EES4_PKS4_PKT1_SD_SA_PKT3_PKT4_S8_PT5_21rocsparse_index_base_b.num_named_barrier, 0
	.set _ZN9rocsparseL18bsrxmvn_5x5_kernelILj50E21rocsparse_complex_numIdEllS1_IfES2_S2_EEvT2_20rocsparse_direction_NS_24const_host_device_scalarIT0_EES4_PKS4_PKT1_SD_SA_PKT3_PKT4_S8_PT5_21rocsparse_index_base_b.private_seg_size, 0
	.set _ZN9rocsparseL18bsrxmvn_5x5_kernelILj50E21rocsparse_complex_numIdEllS1_IfES2_S2_EEvT2_20rocsparse_direction_NS_24const_host_device_scalarIT0_EES4_PKS4_PKT1_SD_SA_PKT3_PKT4_S8_PT5_21rocsparse_index_base_b.uses_vcc, 1
	.set _ZN9rocsparseL18bsrxmvn_5x5_kernelILj50E21rocsparse_complex_numIdEllS1_IfES2_S2_EEvT2_20rocsparse_direction_NS_24const_host_device_scalarIT0_EES4_PKS4_PKT1_SD_SA_PKT3_PKT4_S8_PT5_21rocsparse_index_base_b.uses_flat_scratch, 0
	.set _ZN9rocsparseL18bsrxmvn_5x5_kernelILj50E21rocsparse_complex_numIdEllS1_IfES2_S2_EEvT2_20rocsparse_direction_NS_24const_host_device_scalarIT0_EES4_PKS4_PKT1_SD_SA_PKT3_PKT4_S8_PT5_21rocsparse_index_base_b.has_dyn_sized_stack, 0
	.set _ZN9rocsparseL18bsrxmvn_5x5_kernelILj50E21rocsparse_complex_numIdEllS1_IfES2_S2_EEvT2_20rocsparse_direction_NS_24const_host_device_scalarIT0_EES4_PKS4_PKT1_SD_SA_PKT3_PKT4_S8_PT5_21rocsparse_index_base_b.has_recursion, 0
	.set _ZN9rocsparseL18bsrxmvn_5x5_kernelILj50E21rocsparse_complex_numIdEllS1_IfES2_S2_EEvT2_20rocsparse_direction_NS_24const_host_device_scalarIT0_EES4_PKS4_PKT1_SD_SA_PKT3_PKT4_S8_PT5_21rocsparse_index_base_b.has_indirect_call, 0
	.section	.AMDGPU.csdata,"",@progbits
; Kernel info:
; codeLenInByte = 1780
; TotalNumSgprs: 22
; NumVgprs: 30
; ScratchSize: 0
; MemoryBound: 0
; FloatMode: 240
; IeeeMode: 1
; LDSByteSize: 800 bytes/workgroup (compile time only)
; SGPRBlocks: 0
; VGPRBlocks: 3
; NumSGPRsForWavesPerEU: 22
; NumVGPRsForWavesPerEU: 30
; Occupancy: 16
; WaveLimiterHint : 1
; COMPUTE_PGM_RSRC2:SCRATCH_EN: 0
; COMPUTE_PGM_RSRC2:USER_SGPR: 6
; COMPUTE_PGM_RSRC2:TRAP_HANDLER: 0
; COMPUTE_PGM_RSRC2:TGID_X_EN: 1
; COMPUTE_PGM_RSRC2:TGID_Y_EN: 0
; COMPUTE_PGM_RSRC2:TGID_Z_EN: 0
; COMPUTE_PGM_RSRC2:TIDIG_COMP_CNT: 0
	.section	.AMDGPU.gpr_maximums,"",@progbits
	.set amdgpu.max_num_vgpr, 0
	.set amdgpu.max_num_agpr, 0
	.set amdgpu.max_num_sgpr, 0
	.section	.AMDGPU.csdata,"",@progbits
	.type	__hip_cuid_d4b4a41f1f6b322b,@object ; @__hip_cuid_d4b4a41f1f6b322b
	.section	.bss,"aw",@nobits
	.globl	__hip_cuid_d4b4a41f1f6b322b
__hip_cuid_d4b4a41f1f6b322b:
	.byte	0                               ; 0x0
	.size	__hip_cuid_d4b4a41f1f6b322b, 1

	.ident	"AMD clang version 22.0.0git (https://github.com/RadeonOpenCompute/llvm-project roc-7.2.4 26084 f58b06dce1f9c15707c5f808fd002e18c2accf7e)"
	.section	".note.GNU-stack","",@progbits
	.addrsig
	.addrsig_sym __hip_cuid_d4b4a41f1f6b322b
	.amdgpu_metadata
---
amdhsa.kernels:
  - .args:
      - .offset:         0
        .size:           4
        .value_kind:     by_value
      - .offset:         4
        .size:           4
        .value_kind:     by_value
      - .offset:         8
        .size:           8
        .value_kind:     by_value
      - .offset:         16
        .size:           4
        .value_kind:     by_value
      - .actual_access:  read_only
        .address_space:  global
        .offset:         24
        .size:           8
        .value_kind:     global_buffer
      - .actual_access:  read_only
        .address_space:  global
        .offset:         32
        .size:           8
        .value_kind:     global_buffer
      - .actual_access:  read_only
        .address_space:  global
        .offset:         40
        .size:           8
        .value_kind:     global_buffer
      - .actual_access:  read_only
        .address_space:  global
        .offset:         48
        .size:           8
        .value_kind:     global_buffer
      - .actual_access:  read_only
        .address_space:  global
        .offset:         56
        .size:           8
        .value_kind:     global_buffer
      - .actual_access:  read_only
        .address_space:  global
        .offset:         64
        .size:           8
        .value_kind:     global_buffer
      - .offset:         72
        .size:           8
        .value_kind:     by_value
      - .address_space:  global
        .offset:         80
        .size:           8
        .value_kind:     global_buffer
      - .offset:         88
        .size:           4
        .value_kind:     by_value
      - .offset:         92
        .size:           1
        .value_kind:     by_value
    .group_segment_fixed_size: 200
    .kernarg_segment_align: 8
    .kernarg_segment_size: 96
    .language:       OpenCL C
    .language_version:
      - 2
      - 0
    .max_flat_workgroup_size: 50
    .name:           _ZN9rocsparseL18bsrxmvn_5x5_kernelILj50EfiifffEEvT2_20rocsparse_direction_NS_24const_host_device_scalarIT0_EES1_PKS1_PKT1_SA_S7_PKT3_PKT4_S5_PT5_21rocsparse_index_base_b
    .private_segment_fixed_size: 0
    .sgpr_count:     18
    .sgpr_spill_count: 0
    .symbol:         _ZN9rocsparseL18bsrxmvn_5x5_kernelILj50EfiifffEEvT2_20rocsparse_direction_NS_24const_host_device_scalarIT0_EES1_PKS1_PKT1_SA_S7_PKT3_PKT4_S5_PT5_21rocsparse_index_base_b.kd
    .uniform_work_group_size: 1
    .uses_dynamic_stack: false
    .vgpr_count:     11
    .vgpr_spill_count: 0
    .wavefront_size: 32
    .workgroup_processor_mode: 1
  - .args:
      - .offset:         0
        .size:           4
        .value_kind:     by_value
      - .offset:         8
        .size:           8
        .value_kind:     by_value
      - .offset:         16
        .size:           4
        .value_kind:     by_value
      - .actual_access:  read_only
        .address_space:  global
        .offset:         24
        .size:           8
        .value_kind:     global_buffer
      - .actual_access:  read_only
        .address_space:  global
        .offset:         32
        .size:           8
        .value_kind:     global_buffer
      - .actual_access:  read_only
        .address_space:  global
        .offset:         40
        .size:           8
        .value_kind:     global_buffer
      - .actual_access:  read_only
        .address_space:  global
        .offset:         48
        .size:           8
        .value_kind:     global_buffer
      - .actual_access:  read_only
        .address_space:  global
        .offset:         56
        .size:           8
        .value_kind:     global_buffer
      - .actual_access:  read_only
        .address_space:  global
        .offset:         64
        .size:           8
        .value_kind:     global_buffer
      - .offset:         72
        .size:           8
        .value_kind:     by_value
      - .address_space:  global
        .offset:         80
        .size:           8
        .value_kind:     global_buffer
      - .offset:         88
        .size:           4
        .value_kind:     by_value
      - .offset:         92
        .size:           1
        .value_kind:     by_value
      - .offset:         96
        .size:           4
        .value_kind:     hidden_block_count_x
      - .offset:         100
        .size:           4
        .value_kind:     hidden_block_count_y
      - .offset:         104
        .size:           4
        .value_kind:     hidden_block_count_z
      - .offset:         108
        .size:           2
        .value_kind:     hidden_group_size_x
      - .offset:         110
        .size:           2
        .value_kind:     hidden_group_size_y
      - .offset:         112
        .size:           2
        .value_kind:     hidden_group_size_z
      - .offset:         114
        .size:           2
        .value_kind:     hidden_remainder_x
      - .offset:         116
        .size:           2
        .value_kind:     hidden_remainder_y
      - .offset:         118
        .size:           2
        .value_kind:     hidden_remainder_z
      - .offset:         136
        .size:           8
        .value_kind:     hidden_global_offset_x
      - .offset:         144
        .size:           8
        .value_kind:     hidden_global_offset_y
      - .offset:         152
        .size:           8
        .value_kind:     hidden_global_offset_z
      - .offset:         160
        .size:           2
        .value_kind:     hidden_grid_dims
    .group_segment_fixed_size: 0
    .kernarg_segment_align: 8
    .kernarg_segment_size: 352
    .language:       OpenCL C
    .language_version:
      - 2
      - 0
    .max_flat_workgroup_size: 256
    .name:           _ZN9rocsparseL19sbsrxmvn_5x5_kernelILj256EL20rocsparse_direction_0EiiEEvT2_NS_24const_host_device_scalarIfEES2_PKS2_PKT1_S9_S6_PKfSB_S4_Pf21rocsparse_index_base_b
    .private_segment_fixed_size: 0
    .sgpr_count:     18
    .sgpr_spill_count: 0
    .symbol:         _ZN9rocsparseL19sbsrxmvn_5x5_kernelILj256EL20rocsparse_direction_0EiiEEvT2_NS_24const_host_device_scalarIfEES2_PKS2_PKT1_S9_S6_PKfSB_S4_Pf21rocsparse_index_base_b.kd
    .uniform_work_group_size: 1
    .uses_dynamic_stack: false
    .vgpr_count:     23
    .vgpr_spill_count: 0
    .wavefront_size: 32
    .workgroup_processor_mode: 1
  - .args:
      - .offset:         0
        .size:           4
        .value_kind:     by_value
      - .offset:         8
        .size:           8
        .value_kind:     by_value
      - .offset:         16
        .size:           4
        .value_kind:     by_value
      - .actual_access:  read_only
        .address_space:  global
        .offset:         24
        .size:           8
        .value_kind:     global_buffer
      - .actual_access:  read_only
        .address_space:  global
        .offset:         32
        .size:           8
        .value_kind:     global_buffer
      - .actual_access:  read_only
        .address_space:  global
        .offset:         40
        .size:           8
        .value_kind:     global_buffer
      - .actual_access:  read_only
        .address_space:  global
        .offset:         48
        .size:           8
        .value_kind:     global_buffer
      - .actual_access:  read_only
        .address_space:  global
        .offset:         56
        .size:           8
        .value_kind:     global_buffer
      - .actual_access:  read_only
        .address_space:  global
        .offset:         64
        .size:           8
        .value_kind:     global_buffer
      - .offset:         72
        .size:           8
        .value_kind:     by_value
      - .address_space:  global
        .offset:         80
        .size:           8
        .value_kind:     global_buffer
      - .offset:         88
        .size:           4
        .value_kind:     by_value
      - .offset:         92
        .size:           1
        .value_kind:     by_value
      - .offset:         96
        .size:           4
        .value_kind:     hidden_block_count_x
      - .offset:         100
        .size:           4
        .value_kind:     hidden_block_count_y
      - .offset:         104
        .size:           4
        .value_kind:     hidden_block_count_z
      - .offset:         108
        .size:           2
        .value_kind:     hidden_group_size_x
      - .offset:         110
        .size:           2
        .value_kind:     hidden_group_size_y
      - .offset:         112
        .size:           2
        .value_kind:     hidden_group_size_z
      - .offset:         114
        .size:           2
        .value_kind:     hidden_remainder_x
      - .offset:         116
        .size:           2
        .value_kind:     hidden_remainder_y
      - .offset:         118
        .size:           2
        .value_kind:     hidden_remainder_z
      - .offset:         136
        .size:           8
        .value_kind:     hidden_global_offset_x
      - .offset:         144
        .size:           8
        .value_kind:     hidden_global_offset_y
      - .offset:         152
        .size:           8
        .value_kind:     hidden_global_offset_z
      - .offset:         160
        .size:           2
        .value_kind:     hidden_grid_dims
    .group_segment_fixed_size: 0
    .kernarg_segment_align: 8
    .kernarg_segment_size: 352
    .language:       OpenCL C
    .language_version:
      - 2
      - 0
    .max_flat_workgroup_size: 256
    .name:           _ZN9rocsparseL19sbsrxmvn_5x5_kernelILj256EL20rocsparse_direction_1EiiEEvT2_NS_24const_host_device_scalarIfEES2_PKS2_PKT1_S9_S6_PKfSB_S4_Pf21rocsparse_index_base_b
    .private_segment_fixed_size: 0
    .sgpr_count:     18
    .sgpr_spill_count: 0
    .symbol:         _ZN9rocsparseL19sbsrxmvn_5x5_kernelILj256EL20rocsparse_direction_1EiiEEvT2_NS_24const_host_device_scalarIfEES2_PKS2_PKT1_S9_S6_PKfSB_S4_Pf21rocsparse_index_base_b.kd
    .uniform_work_group_size: 1
    .uses_dynamic_stack: false
    .vgpr_count:     23
    .vgpr_spill_count: 0
    .wavefront_size: 32
    .workgroup_processor_mode: 1
  - .args:
      - .offset:         0
        .size:           4
        .value_kind:     by_value
      - .offset:         4
        .size:           4
        .value_kind:     by_value
      - .offset:         8
        .size:           8
        .value_kind:     by_value
      - .offset:         16
        .size:           4
        .value_kind:     by_value
      - .actual_access:  read_only
        .address_space:  global
        .offset:         24
        .size:           8
        .value_kind:     global_buffer
      - .actual_access:  read_only
        .address_space:  global
        .offset:         32
        .size:           8
        .value_kind:     global_buffer
      - .actual_access:  read_only
        .address_space:  global
        .offset:         40
        .size:           8
        .value_kind:     global_buffer
      - .actual_access:  read_only
        .address_space:  global
        .offset:         48
        .size:           8
        .value_kind:     global_buffer
      - .actual_access:  read_only
        .address_space:  global
        .offset:         56
        .size:           8
        .value_kind:     global_buffer
      - .actual_access:  read_only
        .address_space:  global
        .offset:         64
        .size:           8
        .value_kind:     global_buffer
      - .offset:         72
        .size:           8
        .value_kind:     by_value
      - .address_space:  global
        .offset:         80
        .size:           8
        .value_kind:     global_buffer
      - .offset:         88
        .size:           4
        .value_kind:     by_value
      - .offset:         92
        .size:           1
        .value_kind:     by_value
    .group_segment_fixed_size: 400
    .kernarg_segment_align: 8
    .kernarg_segment_size: 96
    .language:       OpenCL C
    .language_version:
      - 2
      - 0
    .max_flat_workgroup_size: 50
    .name:           _ZN9rocsparseL18bsrxmvn_5x5_kernelILj50EdiidddEEvT2_20rocsparse_direction_NS_24const_host_device_scalarIT0_EES1_PKS1_PKT1_SA_S7_PKT3_PKT4_S5_PT5_21rocsparse_index_base_b
    .private_segment_fixed_size: 0
    .sgpr_count:     16
    .sgpr_spill_count: 0
    .symbol:         _ZN9rocsparseL18bsrxmvn_5x5_kernelILj50EdiidddEEvT2_20rocsparse_direction_NS_24const_host_device_scalarIT0_EES1_PKS1_PKT1_SA_S7_PKT3_PKT4_S5_PT5_21rocsparse_index_base_b.kd
    .uniform_work_group_size: 1
    .uses_dynamic_stack: false
    .vgpr_count:     17
    .vgpr_spill_count: 0
    .wavefront_size: 32
    .workgroup_processor_mode: 1
  - .args:
      - .offset:         0
        .size:           4
        .value_kind:     by_value
      - .offset:         4
        .size:           4
        .value_kind:     by_value
      - .offset:         8
        .size:           8
        .value_kind:     by_value
      - .offset:         16
        .size:           4
        .value_kind:     by_value
      - .actual_access:  read_only
        .address_space:  global
        .offset:         24
        .size:           8
        .value_kind:     global_buffer
      - .actual_access:  read_only
        .address_space:  global
        .offset:         32
        .size:           8
        .value_kind:     global_buffer
      - .actual_access:  read_only
        .address_space:  global
        .offset:         40
        .size:           8
        .value_kind:     global_buffer
      - .actual_access:  read_only
        .address_space:  global
        .offset:         48
        .size:           8
        .value_kind:     global_buffer
      - .actual_access:  read_only
        .address_space:  global
        .offset:         56
        .size:           8
        .value_kind:     global_buffer
      - .actual_access:  read_only
        .address_space:  global
        .offset:         64
        .size:           8
        .value_kind:     global_buffer
      - .offset:         72
        .size:           8
        .value_kind:     by_value
      - .address_space:  global
        .offset:         80
        .size:           8
        .value_kind:     global_buffer
      - .offset:         88
        .size:           4
        .value_kind:     by_value
      - .offset:         92
        .size:           1
        .value_kind:     by_value
    .group_segment_fixed_size: 400
    .kernarg_segment_align: 8
    .kernarg_segment_size: 96
    .language:       OpenCL C
    .language_version:
      - 2
      - 0
    .max_flat_workgroup_size: 50
    .name:           _ZN9rocsparseL18bsrxmvn_5x5_kernelILj50E21rocsparse_complex_numIfEiiS2_S2_S2_EEvT2_20rocsparse_direction_NS_24const_host_device_scalarIT0_EES3_PKS3_PKT1_SC_S9_PKT3_PKT4_S7_PT5_21rocsparse_index_base_b
    .private_segment_fixed_size: 0
    .sgpr_count:     16
    .sgpr_spill_count: 0
    .symbol:         _ZN9rocsparseL18bsrxmvn_5x5_kernelILj50E21rocsparse_complex_numIfEiiS2_S2_S2_EEvT2_20rocsparse_direction_NS_24const_host_device_scalarIT0_EES3_PKS3_PKT1_SC_S9_PKT3_PKT4_S7_PT5_21rocsparse_index_base_b.kd
    .uniform_work_group_size: 1
    .uses_dynamic_stack: false
    .vgpr_count:     16
    .vgpr_spill_count: 0
    .wavefront_size: 32
    .workgroup_processor_mode: 1
  - .args:
      - .offset:         0
        .size:           4
        .value_kind:     by_value
      - .offset:         4
        .size:           4
        .value_kind:     by_value
      - .offset:         8
        .size:           16
        .value_kind:     by_value
      - .offset:         24
        .size:           4
        .value_kind:     by_value
      - .actual_access:  read_only
        .address_space:  global
        .offset:         32
        .size:           8
        .value_kind:     global_buffer
      - .actual_access:  read_only
        .address_space:  global
        .offset:         40
        .size:           8
        .value_kind:     global_buffer
      - .actual_access:  read_only
        .address_space:  global
        .offset:         48
        .size:           8
        .value_kind:     global_buffer
      - .actual_access:  read_only
        .address_space:  global
        .offset:         56
        .size:           8
        .value_kind:     global_buffer
      - .actual_access:  read_only
        .address_space:  global
        .offset:         64
        .size:           8
        .value_kind:     global_buffer
      - .actual_access:  read_only
        .address_space:  global
        .offset:         72
        .size:           8
        .value_kind:     global_buffer
      - .offset:         80
        .size:           16
        .value_kind:     by_value
      - .address_space:  global
        .offset:         96
        .size:           8
        .value_kind:     global_buffer
      - .offset:         104
        .size:           4
        .value_kind:     by_value
      - .offset:         108
        .size:           1
        .value_kind:     by_value
    .group_segment_fixed_size: 800
    .kernarg_segment_align: 8
    .kernarg_segment_size: 112
    .language:       OpenCL C
    .language_version:
      - 2
      - 0
    .max_flat_workgroup_size: 50
    .name:           _ZN9rocsparseL18bsrxmvn_5x5_kernelILj50E21rocsparse_complex_numIdEiiS2_S2_S2_EEvT2_20rocsparse_direction_NS_24const_host_device_scalarIT0_EES3_PKS3_PKT1_SC_S9_PKT3_PKT4_S7_PT5_21rocsparse_index_base_b
    .private_segment_fixed_size: 0
    .sgpr_count:     17
    .sgpr_spill_count: 0
    .symbol:         _ZN9rocsparseL18bsrxmvn_5x5_kernelILj50E21rocsparse_complex_numIdEiiS2_S2_S2_EEvT2_20rocsparse_direction_NS_24const_host_device_scalarIT0_EES3_PKS3_PKT1_SC_S9_PKT3_PKT4_S7_PT5_21rocsparse_index_base_b.kd
    .uniform_work_group_size: 1
    .uses_dynamic_stack: false
    .vgpr_count:     28
    .vgpr_spill_count: 0
    .wavefront_size: 32
    .workgroup_processor_mode: 1
  - .args:
      - .offset:         0
        .size:           4
        .value_kind:     by_value
      - .offset:         4
        .size:           4
        .value_kind:     by_value
      - .offset:         8
        .size:           8
        .value_kind:     by_value
      - .offset:         16
        .size:           4
        .value_kind:     by_value
      - .actual_access:  read_only
        .address_space:  global
        .offset:         24
        .size:           8
        .value_kind:     global_buffer
      - .actual_access:  read_only
        .address_space:  global
        .offset:         32
        .size:           8
        .value_kind:     global_buffer
      - .actual_access:  read_only
        .address_space:  global
        .offset:         40
        .size:           8
        .value_kind:     global_buffer
      - .actual_access:  read_only
        .address_space:  global
        .offset:         48
        .size:           8
        .value_kind:     global_buffer
      - .actual_access:  read_only
        .address_space:  global
        .offset:         56
        .size:           8
        .value_kind:     global_buffer
      - .actual_access:  read_only
        .address_space:  global
        .offset:         64
        .size:           8
        .value_kind:     global_buffer
      - .offset:         72
        .size:           8
        .value_kind:     by_value
      - .address_space:  global
        .offset:         80
        .size:           8
        .value_kind:     global_buffer
      - .offset:         88
        .size:           4
        .value_kind:     by_value
      - .offset:         92
        .size:           1
        .value_kind:     by_value
    .group_segment_fixed_size: 200
    .kernarg_segment_align: 8
    .kernarg_segment_size: 96
    .language:       OpenCL C
    .language_version:
      - 2
      - 0
    .max_flat_workgroup_size: 50
    .name:           _ZN9rocsparseL18bsrxmvn_5x5_kernelILj50EflifffEEvT2_20rocsparse_direction_NS_24const_host_device_scalarIT0_EES1_PKS1_PKT1_SA_S7_PKT3_PKT4_S5_PT5_21rocsparse_index_base_b
    .private_segment_fixed_size: 0
    .sgpr_count:     26
    .sgpr_spill_count: 0
    .symbol:         _ZN9rocsparseL18bsrxmvn_5x5_kernelILj50EflifffEEvT2_20rocsparse_direction_NS_24const_host_device_scalarIT0_EES1_PKS1_PKT1_SA_S7_PKT3_PKT4_S5_PT5_21rocsparse_index_base_b.kd
    .uniform_work_group_size: 1
    .uses_dynamic_stack: false
    .vgpr_count:     13
    .vgpr_spill_count: 0
    .wavefront_size: 32
    .workgroup_processor_mode: 1
  - .args:
      - .offset:         0
        .size:           4
        .value_kind:     by_value
      - .offset:         8
        .size:           8
        .value_kind:     by_value
      - .offset:         16
        .size:           4
        .value_kind:     by_value
      - .actual_access:  read_only
        .address_space:  global
        .offset:         24
        .size:           8
        .value_kind:     global_buffer
      - .actual_access:  read_only
        .address_space:  global
        .offset:         32
        .size:           8
        .value_kind:     global_buffer
      - .actual_access:  read_only
        .address_space:  global
        .offset:         40
        .size:           8
        .value_kind:     global_buffer
      - .actual_access:  read_only
        .address_space:  global
        .offset:         48
        .size:           8
        .value_kind:     global_buffer
      - .actual_access:  read_only
        .address_space:  global
        .offset:         56
        .size:           8
        .value_kind:     global_buffer
      - .actual_access:  read_only
        .address_space:  global
        .offset:         64
        .size:           8
        .value_kind:     global_buffer
      - .offset:         72
        .size:           8
        .value_kind:     by_value
      - .address_space:  global
        .offset:         80
        .size:           8
        .value_kind:     global_buffer
      - .offset:         88
        .size:           4
        .value_kind:     by_value
      - .offset:         92
        .size:           1
        .value_kind:     by_value
      - .offset:         96
        .size:           4
        .value_kind:     hidden_block_count_x
      - .offset:         100
        .size:           4
        .value_kind:     hidden_block_count_y
      - .offset:         104
        .size:           4
        .value_kind:     hidden_block_count_z
      - .offset:         108
        .size:           2
        .value_kind:     hidden_group_size_x
      - .offset:         110
        .size:           2
        .value_kind:     hidden_group_size_y
      - .offset:         112
        .size:           2
        .value_kind:     hidden_group_size_z
      - .offset:         114
        .size:           2
        .value_kind:     hidden_remainder_x
      - .offset:         116
        .size:           2
        .value_kind:     hidden_remainder_y
      - .offset:         118
        .size:           2
        .value_kind:     hidden_remainder_z
      - .offset:         136
        .size:           8
        .value_kind:     hidden_global_offset_x
      - .offset:         144
        .size:           8
        .value_kind:     hidden_global_offset_y
      - .offset:         152
        .size:           8
        .value_kind:     hidden_global_offset_z
      - .offset:         160
        .size:           2
        .value_kind:     hidden_grid_dims
    .group_segment_fixed_size: 0
    .kernarg_segment_align: 8
    .kernarg_segment_size: 352
    .language:       OpenCL C
    .language_version:
      - 2
      - 0
    .max_flat_workgroup_size: 256
    .name:           _ZN9rocsparseL19sbsrxmvn_5x5_kernelILj256EL20rocsparse_direction_0EliEEvT2_NS_24const_host_device_scalarIfEES2_PKS2_PKT1_S9_S6_PKfSB_S4_Pf21rocsparse_index_base_b
    .private_segment_fixed_size: 0
    .sgpr_count:     18
    .sgpr_spill_count: 0
    .symbol:         _ZN9rocsparseL19sbsrxmvn_5x5_kernelILj256EL20rocsparse_direction_0EliEEvT2_NS_24const_host_device_scalarIfEES2_PKS2_PKT1_S9_S6_PKfSB_S4_Pf21rocsparse_index_base_b.kd
    .uniform_work_group_size: 1
    .uses_dynamic_stack: false
    .vgpr_count:     25
    .vgpr_spill_count: 0
    .wavefront_size: 32
    .workgroup_processor_mode: 1
  - .args:
      - .offset:         0
        .size:           4
        .value_kind:     by_value
      - .offset:         8
        .size:           8
        .value_kind:     by_value
      - .offset:         16
        .size:           4
        .value_kind:     by_value
      - .actual_access:  read_only
        .address_space:  global
        .offset:         24
        .size:           8
        .value_kind:     global_buffer
      - .actual_access:  read_only
        .address_space:  global
        .offset:         32
        .size:           8
        .value_kind:     global_buffer
      - .actual_access:  read_only
        .address_space:  global
        .offset:         40
        .size:           8
        .value_kind:     global_buffer
      - .actual_access:  read_only
        .address_space:  global
        .offset:         48
        .size:           8
        .value_kind:     global_buffer
      - .actual_access:  read_only
        .address_space:  global
        .offset:         56
        .size:           8
        .value_kind:     global_buffer
      - .actual_access:  read_only
        .address_space:  global
        .offset:         64
        .size:           8
        .value_kind:     global_buffer
      - .offset:         72
        .size:           8
        .value_kind:     by_value
      - .address_space:  global
        .offset:         80
        .size:           8
        .value_kind:     global_buffer
      - .offset:         88
        .size:           4
        .value_kind:     by_value
      - .offset:         92
        .size:           1
        .value_kind:     by_value
      - .offset:         96
        .size:           4
        .value_kind:     hidden_block_count_x
      - .offset:         100
        .size:           4
        .value_kind:     hidden_block_count_y
      - .offset:         104
        .size:           4
        .value_kind:     hidden_block_count_z
      - .offset:         108
        .size:           2
        .value_kind:     hidden_group_size_x
      - .offset:         110
        .size:           2
        .value_kind:     hidden_group_size_y
      - .offset:         112
        .size:           2
        .value_kind:     hidden_group_size_z
      - .offset:         114
        .size:           2
        .value_kind:     hidden_remainder_x
      - .offset:         116
        .size:           2
        .value_kind:     hidden_remainder_y
      - .offset:         118
        .size:           2
        .value_kind:     hidden_remainder_z
      - .offset:         136
        .size:           8
        .value_kind:     hidden_global_offset_x
      - .offset:         144
        .size:           8
        .value_kind:     hidden_global_offset_y
      - .offset:         152
        .size:           8
        .value_kind:     hidden_global_offset_z
      - .offset:         160
        .size:           2
        .value_kind:     hidden_grid_dims
    .group_segment_fixed_size: 0
    .kernarg_segment_align: 8
    .kernarg_segment_size: 352
    .language:       OpenCL C
    .language_version:
      - 2
      - 0
    .max_flat_workgroup_size: 256
    .name:           _ZN9rocsparseL19sbsrxmvn_5x5_kernelILj256EL20rocsparse_direction_1EliEEvT2_NS_24const_host_device_scalarIfEES2_PKS2_PKT1_S9_S6_PKfSB_S4_Pf21rocsparse_index_base_b
    .private_segment_fixed_size: 0
    .sgpr_count:     18
    .sgpr_spill_count: 0
    .symbol:         _ZN9rocsparseL19sbsrxmvn_5x5_kernelILj256EL20rocsparse_direction_1EliEEvT2_NS_24const_host_device_scalarIfEES2_PKS2_PKT1_S9_S6_PKfSB_S4_Pf21rocsparse_index_base_b.kd
    .uniform_work_group_size: 1
    .uses_dynamic_stack: false
    .vgpr_count:     25
    .vgpr_spill_count: 0
    .wavefront_size: 32
    .workgroup_processor_mode: 1
  - .args:
      - .offset:         0
        .size:           4
        .value_kind:     by_value
      - .offset:         4
        .size:           4
        .value_kind:     by_value
      - .offset:         8
        .size:           8
        .value_kind:     by_value
      - .offset:         16
        .size:           4
        .value_kind:     by_value
      - .actual_access:  read_only
        .address_space:  global
        .offset:         24
        .size:           8
        .value_kind:     global_buffer
      - .actual_access:  read_only
        .address_space:  global
        .offset:         32
        .size:           8
        .value_kind:     global_buffer
      - .actual_access:  read_only
        .address_space:  global
        .offset:         40
        .size:           8
        .value_kind:     global_buffer
      - .actual_access:  read_only
        .address_space:  global
        .offset:         48
        .size:           8
        .value_kind:     global_buffer
      - .actual_access:  read_only
        .address_space:  global
        .offset:         56
        .size:           8
        .value_kind:     global_buffer
      - .actual_access:  read_only
        .address_space:  global
        .offset:         64
        .size:           8
        .value_kind:     global_buffer
      - .offset:         72
        .size:           8
        .value_kind:     by_value
      - .address_space:  global
        .offset:         80
        .size:           8
        .value_kind:     global_buffer
      - .offset:         88
        .size:           4
        .value_kind:     by_value
      - .offset:         92
        .size:           1
        .value_kind:     by_value
    .group_segment_fixed_size: 400
    .kernarg_segment_align: 8
    .kernarg_segment_size: 96
    .language:       OpenCL C
    .language_version:
      - 2
      - 0
    .max_flat_workgroup_size: 50
    .name:           _ZN9rocsparseL18bsrxmvn_5x5_kernelILj50EdlidddEEvT2_20rocsparse_direction_NS_24const_host_device_scalarIT0_EES1_PKS1_PKT1_SA_S7_PKT3_PKT4_S5_PT5_21rocsparse_index_base_b
    .private_segment_fixed_size: 0
    .sgpr_count:     22
    .sgpr_spill_count: 0
    .symbol:         _ZN9rocsparseL18bsrxmvn_5x5_kernelILj50EdlidddEEvT2_20rocsparse_direction_NS_24const_host_device_scalarIT0_EES1_PKS1_PKT1_SA_S7_PKT3_PKT4_S5_PT5_21rocsparse_index_base_b.kd
    .uniform_work_group_size: 1
    .uses_dynamic_stack: false
    .vgpr_count:     19
    .vgpr_spill_count: 0
    .wavefront_size: 32
    .workgroup_processor_mode: 1
  - .args:
      - .offset:         0
        .size:           4
        .value_kind:     by_value
      - .offset:         4
        .size:           4
        .value_kind:     by_value
      - .offset:         8
        .size:           8
        .value_kind:     by_value
      - .offset:         16
        .size:           4
        .value_kind:     by_value
      - .actual_access:  read_only
        .address_space:  global
        .offset:         24
        .size:           8
        .value_kind:     global_buffer
      - .actual_access:  read_only
        .address_space:  global
        .offset:         32
        .size:           8
        .value_kind:     global_buffer
      - .actual_access:  read_only
        .address_space:  global
        .offset:         40
        .size:           8
        .value_kind:     global_buffer
      - .actual_access:  read_only
        .address_space:  global
        .offset:         48
        .size:           8
        .value_kind:     global_buffer
      - .actual_access:  read_only
        .address_space:  global
        .offset:         56
        .size:           8
        .value_kind:     global_buffer
      - .actual_access:  read_only
        .address_space:  global
        .offset:         64
        .size:           8
        .value_kind:     global_buffer
      - .offset:         72
        .size:           8
        .value_kind:     by_value
      - .address_space:  global
        .offset:         80
        .size:           8
        .value_kind:     global_buffer
      - .offset:         88
        .size:           4
        .value_kind:     by_value
      - .offset:         92
        .size:           1
        .value_kind:     by_value
    .group_segment_fixed_size: 400
    .kernarg_segment_align: 8
    .kernarg_segment_size: 96
    .language:       OpenCL C
    .language_version:
      - 2
      - 0
    .max_flat_workgroup_size: 50
    .name:           _ZN9rocsparseL18bsrxmvn_5x5_kernelILj50E21rocsparse_complex_numIfEliS2_S2_S2_EEvT2_20rocsparse_direction_NS_24const_host_device_scalarIT0_EES3_PKS3_PKT1_SC_S9_PKT3_PKT4_S7_PT5_21rocsparse_index_base_b
    .private_segment_fixed_size: 0
    .sgpr_count:     22
    .sgpr_spill_count: 0
    .symbol:         _ZN9rocsparseL18bsrxmvn_5x5_kernelILj50E21rocsparse_complex_numIfEliS2_S2_S2_EEvT2_20rocsparse_direction_NS_24const_host_device_scalarIT0_EES3_PKS3_PKT1_SC_S9_PKT3_PKT4_S7_PT5_21rocsparse_index_base_b.kd
    .uniform_work_group_size: 1
    .uses_dynamic_stack: false
    .vgpr_count:     19
    .vgpr_spill_count: 0
    .wavefront_size: 32
    .workgroup_processor_mode: 1
  - .args:
      - .offset:         0
        .size:           4
        .value_kind:     by_value
      - .offset:         4
        .size:           4
        .value_kind:     by_value
      - .offset:         8
        .size:           16
        .value_kind:     by_value
      - .offset:         24
        .size:           4
        .value_kind:     by_value
      - .actual_access:  read_only
        .address_space:  global
        .offset:         32
        .size:           8
        .value_kind:     global_buffer
      - .actual_access:  read_only
        .address_space:  global
        .offset:         40
        .size:           8
        .value_kind:     global_buffer
      - .actual_access:  read_only
        .address_space:  global
        .offset:         48
        .size:           8
        .value_kind:     global_buffer
      - .actual_access:  read_only
        .address_space:  global
        .offset:         56
        .size:           8
        .value_kind:     global_buffer
      - .actual_access:  read_only
        .address_space:  global
        .offset:         64
        .size:           8
        .value_kind:     global_buffer
      - .actual_access:  read_only
        .address_space:  global
        .offset:         72
        .size:           8
        .value_kind:     global_buffer
      - .offset:         80
        .size:           16
        .value_kind:     by_value
      - .address_space:  global
        .offset:         96
        .size:           8
        .value_kind:     global_buffer
      - .offset:         104
        .size:           4
        .value_kind:     by_value
      - .offset:         108
        .size:           1
        .value_kind:     by_value
    .group_segment_fixed_size: 800
    .kernarg_segment_align: 8
    .kernarg_segment_size: 112
    .language:       OpenCL C
    .language_version:
      - 2
      - 0
    .max_flat_workgroup_size: 50
    .name:           _ZN9rocsparseL18bsrxmvn_5x5_kernelILj50E21rocsparse_complex_numIdEliS2_S2_S2_EEvT2_20rocsparse_direction_NS_24const_host_device_scalarIT0_EES3_PKS3_PKT1_SC_S9_PKT3_PKT4_S7_PT5_21rocsparse_index_base_b
    .private_segment_fixed_size: 0
    .sgpr_count:     22
    .sgpr_spill_count: 0
    .symbol:         _ZN9rocsparseL18bsrxmvn_5x5_kernelILj50E21rocsparse_complex_numIdEliS2_S2_S2_EEvT2_20rocsparse_direction_NS_24const_host_device_scalarIT0_EES3_PKS3_PKT1_SC_S9_PKT3_PKT4_S7_PT5_21rocsparse_index_base_b.kd
    .uniform_work_group_size: 1
    .uses_dynamic_stack: false
    .vgpr_count:     29
    .vgpr_spill_count: 0
    .wavefront_size: 32
    .workgroup_processor_mode: 1
  - .args:
      - .offset:         0
        .size:           8
        .value_kind:     by_value
      - .offset:         8
        .size:           4
        .value_kind:     by_value
      - .offset:         16
        .size:           8
        .value_kind:     by_value
      - .offset:         24
        .size:           8
        .value_kind:     by_value
      - .actual_access:  read_only
        .address_space:  global
        .offset:         32
        .size:           8
        .value_kind:     global_buffer
      - .actual_access:  read_only
        .address_space:  global
        .offset:         40
        .size:           8
        .value_kind:     global_buffer
      - .actual_access:  read_only
        .address_space:  global
        .offset:         48
        .size:           8
        .value_kind:     global_buffer
      - .actual_access:  read_only
        .address_space:  global
        .offset:         56
        .size:           8
        .value_kind:     global_buffer
      - .actual_access:  read_only
        .address_space:  global
        .offset:         64
        .size:           8
        .value_kind:     global_buffer
      - .actual_access:  read_only
        .address_space:  global
        .offset:         72
        .size:           8
        .value_kind:     global_buffer
      - .offset:         80
        .size:           8
        .value_kind:     by_value
      - .address_space:  global
        .offset:         88
        .size:           8
        .value_kind:     global_buffer
      - .offset:         96
        .size:           4
        .value_kind:     by_value
      - .offset:         100
        .size:           1
        .value_kind:     by_value
    .group_segment_fixed_size: 200
    .kernarg_segment_align: 8
    .kernarg_segment_size: 104
    .language:       OpenCL C
    .language_version:
      - 2
      - 0
    .max_flat_workgroup_size: 50
    .name:           _ZN9rocsparseL18bsrxmvn_5x5_kernelILj50EfllfffEEvT2_20rocsparse_direction_NS_24const_host_device_scalarIT0_EES1_PKS1_PKT1_SA_S7_PKT3_PKT4_S5_PT5_21rocsparse_index_base_b
    .private_segment_fixed_size: 0
    .sgpr_count:     26
    .sgpr_spill_count: 0
    .symbol:         _ZN9rocsparseL18bsrxmvn_5x5_kernelILj50EfllfffEEvT2_20rocsparse_direction_NS_24const_host_device_scalarIT0_EES1_PKS1_PKT1_SA_S7_PKT3_PKT4_S5_PT5_21rocsparse_index_base_b.kd
    .uniform_work_group_size: 1
    .uses_dynamic_stack: false
    .vgpr_count:     15
    .vgpr_spill_count: 0
    .wavefront_size: 32
    .workgroup_processor_mode: 1
  - .args:
      - .offset:         0
        .size:           8
        .value_kind:     by_value
      - .offset:         8
        .size:           8
        .value_kind:     by_value
      - .offset:         16
        .size:           8
        .value_kind:     by_value
      - .actual_access:  read_only
        .address_space:  global
        .offset:         24
        .size:           8
        .value_kind:     global_buffer
      - .actual_access:  read_only
        .address_space:  global
        .offset:         32
        .size:           8
        .value_kind:     global_buffer
      - .actual_access:  read_only
        .address_space:  global
        .offset:         40
        .size:           8
        .value_kind:     global_buffer
      - .actual_access:  read_only
        .address_space:  global
        .offset:         48
        .size:           8
        .value_kind:     global_buffer
      - .actual_access:  read_only
        .address_space:  global
        .offset:         56
        .size:           8
        .value_kind:     global_buffer
      - .actual_access:  read_only
        .address_space:  global
        .offset:         64
        .size:           8
        .value_kind:     global_buffer
      - .offset:         72
        .size:           8
        .value_kind:     by_value
      - .address_space:  global
        .offset:         80
        .size:           8
        .value_kind:     global_buffer
      - .offset:         88
        .size:           4
        .value_kind:     by_value
      - .offset:         92
        .size:           1
        .value_kind:     by_value
      - .offset:         96
        .size:           4
        .value_kind:     hidden_block_count_x
      - .offset:         100
        .size:           4
        .value_kind:     hidden_block_count_y
      - .offset:         104
        .size:           4
        .value_kind:     hidden_block_count_z
      - .offset:         108
        .size:           2
        .value_kind:     hidden_group_size_x
      - .offset:         110
        .size:           2
        .value_kind:     hidden_group_size_y
      - .offset:         112
        .size:           2
        .value_kind:     hidden_group_size_z
      - .offset:         114
        .size:           2
        .value_kind:     hidden_remainder_x
      - .offset:         116
        .size:           2
        .value_kind:     hidden_remainder_y
      - .offset:         118
        .size:           2
        .value_kind:     hidden_remainder_z
      - .offset:         136
        .size:           8
        .value_kind:     hidden_global_offset_x
      - .offset:         144
        .size:           8
        .value_kind:     hidden_global_offset_y
      - .offset:         152
        .size:           8
        .value_kind:     hidden_global_offset_z
      - .offset:         160
        .size:           2
        .value_kind:     hidden_grid_dims
    .group_segment_fixed_size: 0
    .kernarg_segment_align: 8
    .kernarg_segment_size: 352
    .language:       OpenCL C
    .language_version:
      - 2
      - 0
    .max_flat_workgroup_size: 256
    .name:           _ZN9rocsparseL19sbsrxmvn_5x5_kernelILj256EL20rocsparse_direction_0EllEEvT2_NS_24const_host_device_scalarIfEES2_PKS2_PKT1_S9_S6_PKfSB_S4_Pf21rocsparse_index_base_b
    .private_segment_fixed_size: 0
    .sgpr_count:     18
    .sgpr_spill_count: 0
    .symbol:         _ZN9rocsparseL19sbsrxmvn_5x5_kernelILj256EL20rocsparse_direction_0EllEEvT2_NS_24const_host_device_scalarIfEES2_PKS2_PKT1_S9_S6_PKfSB_S4_Pf21rocsparse_index_base_b.kd
    .uniform_work_group_size: 1
    .uses_dynamic_stack: false
    .vgpr_count:     29
    .vgpr_spill_count: 0
    .wavefront_size: 32
    .workgroup_processor_mode: 1
  - .args:
      - .offset:         0
        .size:           8
        .value_kind:     by_value
      - .offset:         8
        .size:           8
        .value_kind:     by_value
      - .offset:         16
        .size:           8
        .value_kind:     by_value
      - .actual_access:  read_only
        .address_space:  global
        .offset:         24
        .size:           8
        .value_kind:     global_buffer
      - .actual_access:  read_only
        .address_space:  global
        .offset:         32
        .size:           8
        .value_kind:     global_buffer
      - .actual_access:  read_only
        .address_space:  global
        .offset:         40
        .size:           8
        .value_kind:     global_buffer
      - .actual_access:  read_only
        .address_space:  global
        .offset:         48
        .size:           8
        .value_kind:     global_buffer
      - .actual_access:  read_only
        .address_space:  global
        .offset:         56
        .size:           8
        .value_kind:     global_buffer
      - .actual_access:  read_only
        .address_space:  global
        .offset:         64
        .size:           8
        .value_kind:     global_buffer
      - .offset:         72
        .size:           8
        .value_kind:     by_value
      - .address_space:  global
        .offset:         80
        .size:           8
        .value_kind:     global_buffer
      - .offset:         88
        .size:           4
        .value_kind:     by_value
      - .offset:         92
        .size:           1
        .value_kind:     by_value
      - .offset:         96
        .size:           4
        .value_kind:     hidden_block_count_x
      - .offset:         100
        .size:           4
        .value_kind:     hidden_block_count_y
      - .offset:         104
        .size:           4
        .value_kind:     hidden_block_count_z
      - .offset:         108
        .size:           2
        .value_kind:     hidden_group_size_x
      - .offset:         110
        .size:           2
        .value_kind:     hidden_group_size_y
      - .offset:         112
        .size:           2
        .value_kind:     hidden_group_size_z
      - .offset:         114
        .size:           2
        .value_kind:     hidden_remainder_x
      - .offset:         116
        .size:           2
        .value_kind:     hidden_remainder_y
      - .offset:         118
        .size:           2
        .value_kind:     hidden_remainder_z
      - .offset:         136
        .size:           8
        .value_kind:     hidden_global_offset_x
      - .offset:         144
        .size:           8
        .value_kind:     hidden_global_offset_y
      - .offset:         152
        .size:           8
        .value_kind:     hidden_global_offset_z
      - .offset:         160
        .size:           2
        .value_kind:     hidden_grid_dims
    .group_segment_fixed_size: 0
    .kernarg_segment_align: 8
    .kernarg_segment_size: 352
    .language:       OpenCL C
    .language_version:
      - 2
      - 0
    .max_flat_workgroup_size: 256
    .name:           _ZN9rocsparseL19sbsrxmvn_5x5_kernelILj256EL20rocsparse_direction_1EllEEvT2_NS_24const_host_device_scalarIfEES2_PKS2_PKT1_S9_S6_PKfSB_S4_Pf21rocsparse_index_base_b
    .private_segment_fixed_size: 0
    .sgpr_count:     18
    .sgpr_spill_count: 0
    .symbol:         _ZN9rocsparseL19sbsrxmvn_5x5_kernelILj256EL20rocsparse_direction_1EllEEvT2_NS_24const_host_device_scalarIfEES2_PKS2_PKT1_S9_S6_PKfSB_S4_Pf21rocsparse_index_base_b.kd
    .uniform_work_group_size: 1
    .uses_dynamic_stack: false
    .vgpr_count:     29
    .vgpr_spill_count: 0
    .wavefront_size: 32
    .workgroup_processor_mode: 1
  - .args:
      - .offset:         0
        .size:           8
        .value_kind:     by_value
      - .offset:         8
        .size:           4
        .value_kind:     by_value
      - .offset:         16
        .size:           8
        .value_kind:     by_value
      - .offset:         24
        .size:           8
        .value_kind:     by_value
      - .actual_access:  read_only
        .address_space:  global
        .offset:         32
        .size:           8
        .value_kind:     global_buffer
      - .actual_access:  read_only
        .address_space:  global
        .offset:         40
        .size:           8
        .value_kind:     global_buffer
      - .actual_access:  read_only
        .address_space:  global
        .offset:         48
        .size:           8
        .value_kind:     global_buffer
      - .actual_access:  read_only
        .address_space:  global
        .offset:         56
        .size:           8
        .value_kind:     global_buffer
      - .actual_access:  read_only
        .address_space:  global
        .offset:         64
        .size:           8
        .value_kind:     global_buffer
      - .actual_access:  read_only
        .address_space:  global
        .offset:         72
        .size:           8
        .value_kind:     global_buffer
      - .offset:         80
        .size:           8
        .value_kind:     by_value
      - .address_space:  global
        .offset:         88
        .size:           8
        .value_kind:     global_buffer
      - .offset:         96
        .size:           4
        .value_kind:     by_value
      - .offset:         100
        .size:           1
        .value_kind:     by_value
    .group_segment_fixed_size: 400
    .kernarg_segment_align: 8
    .kernarg_segment_size: 104
    .language:       OpenCL C
    .language_version:
      - 2
      - 0
    .max_flat_workgroup_size: 50
    .name:           _ZN9rocsparseL18bsrxmvn_5x5_kernelILj50EdlldddEEvT2_20rocsparse_direction_NS_24const_host_device_scalarIT0_EES1_PKS1_PKT1_SA_S7_PKT3_PKT4_S5_PT5_21rocsparse_index_base_b
    .private_segment_fixed_size: 0
    .sgpr_count:     22
    .sgpr_spill_count: 0
    .symbol:         _ZN9rocsparseL18bsrxmvn_5x5_kernelILj50EdlldddEEvT2_20rocsparse_direction_NS_24const_host_device_scalarIT0_EES1_PKS1_PKT1_SA_S7_PKT3_PKT4_S5_PT5_21rocsparse_index_base_b.kd
    .uniform_work_group_size: 1
    .uses_dynamic_stack: false
    .vgpr_count:     21
    .vgpr_spill_count: 0
    .wavefront_size: 32
    .workgroup_processor_mode: 1
  - .args:
      - .offset:         0
        .size:           8
        .value_kind:     by_value
      - .offset:         8
        .size:           4
        .value_kind:     by_value
      - .offset:         16
        .size:           8
        .value_kind:     by_value
      - .offset:         24
        .size:           8
        .value_kind:     by_value
      - .actual_access:  read_only
        .address_space:  global
        .offset:         32
        .size:           8
        .value_kind:     global_buffer
      - .actual_access:  read_only
        .address_space:  global
        .offset:         40
        .size:           8
        .value_kind:     global_buffer
      - .actual_access:  read_only
        .address_space:  global
        .offset:         48
        .size:           8
        .value_kind:     global_buffer
      - .actual_access:  read_only
        .address_space:  global
        .offset:         56
        .size:           8
        .value_kind:     global_buffer
      - .actual_access:  read_only
        .address_space:  global
        .offset:         64
        .size:           8
        .value_kind:     global_buffer
      - .actual_access:  read_only
        .address_space:  global
        .offset:         72
        .size:           8
        .value_kind:     global_buffer
      - .offset:         80
        .size:           8
        .value_kind:     by_value
      - .address_space:  global
        .offset:         88
        .size:           8
        .value_kind:     global_buffer
      - .offset:         96
        .size:           4
        .value_kind:     by_value
      - .offset:         100
        .size:           1
        .value_kind:     by_value
    .group_segment_fixed_size: 400
    .kernarg_segment_align: 8
    .kernarg_segment_size: 104
    .language:       OpenCL C
    .language_version:
      - 2
      - 0
    .max_flat_workgroup_size: 50
    .name:           _ZN9rocsparseL18bsrxmvn_5x5_kernelILj50E21rocsparse_complex_numIfEllS2_S2_S2_EEvT2_20rocsparse_direction_NS_24const_host_device_scalarIT0_EES3_PKS3_PKT1_SC_S9_PKT3_PKT4_S7_PT5_21rocsparse_index_base_b
    .private_segment_fixed_size: 0
    .sgpr_count:     22
    .sgpr_spill_count: 0
    .symbol:         _ZN9rocsparseL18bsrxmvn_5x5_kernelILj50E21rocsparse_complex_numIfEllS2_S2_S2_EEvT2_20rocsparse_direction_NS_24const_host_device_scalarIT0_EES3_PKS3_PKT1_SC_S9_PKT3_PKT4_S7_PT5_21rocsparse_index_base_b.kd
    .uniform_work_group_size: 1
    .uses_dynamic_stack: false
    .vgpr_count:     21
    .vgpr_spill_count: 0
    .wavefront_size: 32
    .workgroup_processor_mode: 1
  - .args:
      - .offset:         0
        .size:           8
        .value_kind:     by_value
      - .offset:         8
        .size:           4
        .value_kind:     by_value
      - .offset:         16
        .size:           16
        .value_kind:     by_value
      - .offset:         32
        .size:           8
        .value_kind:     by_value
      - .actual_access:  read_only
        .address_space:  global
        .offset:         40
        .size:           8
        .value_kind:     global_buffer
      - .actual_access:  read_only
        .address_space:  global
        .offset:         48
        .size:           8
        .value_kind:     global_buffer
      - .actual_access:  read_only
        .address_space:  global
        .offset:         56
        .size:           8
        .value_kind:     global_buffer
      - .actual_access:  read_only
        .address_space:  global
        .offset:         64
        .size:           8
        .value_kind:     global_buffer
      - .actual_access:  read_only
        .address_space:  global
        .offset:         72
        .size:           8
        .value_kind:     global_buffer
      - .actual_access:  read_only
        .address_space:  global
        .offset:         80
        .size:           8
        .value_kind:     global_buffer
      - .offset:         88
        .size:           16
        .value_kind:     by_value
      - .address_space:  global
        .offset:         104
        .size:           8
        .value_kind:     global_buffer
      - .offset:         112
        .size:           4
        .value_kind:     by_value
      - .offset:         116
        .size:           1
        .value_kind:     by_value
    .group_segment_fixed_size: 800
    .kernarg_segment_align: 8
    .kernarg_segment_size: 120
    .language:       OpenCL C
    .language_version:
      - 2
      - 0
    .max_flat_workgroup_size: 50
    .name:           _ZN9rocsparseL18bsrxmvn_5x5_kernelILj50E21rocsparse_complex_numIdEllS2_S2_S2_EEvT2_20rocsparse_direction_NS_24const_host_device_scalarIT0_EES3_PKS3_PKT1_SC_S9_PKT3_PKT4_S7_PT5_21rocsparse_index_base_b
    .private_segment_fixed_size: 0
    .sgpr_count:     22
    .sgpr_spill_count: 0
    .symbol:         _ZN9rocsparseL18bsrxmvn_5x5_kernelILj50E21rocsparse_complex_numIdEllS2_S2_S2_EEvT2_20rocsparse_direction_NS_24const_host_device_scalarIT0_EES3_PKS3_PKT1_SC_S9_PKT3_PKT4_S7_PT5_21rocsparse_index_base_b.kd
    .uniform_work_group_size: 1
    .uses_dynamic_stack: false
    .vgpr_count:     31
    .vgpr_spill_count: 0
    .wavefront_size: 32
    .workgroup_processor_mode: 1
  - .args:
      - .offset:         0
        .size:           4
        .value_kind:     by_value
      - .offset:         4
        .size:           4
        .value_kind:     by_value
      - .offset:         8
        .size:           8
        .value_kind:     by_value
      - .offset:         16
        .size:           4
        .value_kind:     by_value
      - .actual_access:  read_only
        .address_space:  global
        .offset:         24
        .size:           8
        .value_kind:     global_buffer
      - .actual_access:  read_only
        .address_space:  global
        .offset:         32
        .size:           8
        .value_kind:     global_buffer
      - .actual_access:  read_only
        .address_space:  global
        .offset:         40
        .size:           8
        .value_kind:     global_buffer
      - .actual_access:  read_only
        .address_space:  global
        .offset:         48
        .size:           8
        .value_kind:     global_buffer
      - .actual_access:  read_only
        .address_space:  global
        .offset:         56
        .size:           8
        .value_kind:     global_buffer
      - .actual_access:  read_only
        .address_space:  global
        .offset:         64
        .size:           8
        .value_kind:     global_buffer
      - .offset:         72
        .size:           8
        .value_kind:     by_value
      - .address_space:  global
        .offset:         80
        .size:           8
        .value_kind:     global_buffer
      - .offset:         88
        .size:           4
        .value_kind:     by_value
      - .offset:         92
        .size:           1
        .value_kind:     by_value
    .group_segment_fixed_size: 200
    .kernarg_segment_align: 8
    .kernarg_segment_size: 96
    .language:       OpenCL C
    .language_version:
      - 2
      - 0
    .max_flat_workgroup_size: 50
    .name:           _ZN9rocsparseL18bsrxmvn_5x5_kernelILj50EiiiaaiEEvT2_20rocsparse_direction_NS_24const_host_device_scalarIT0_EES1_PKS1_PKT1_SA_S7_PKT3_PKT4_S5_PT5_21rocsparse_index_base_b
    .private_segment_fixed_size: 0
    .sgpr_count:     18
    .sgpr_spill_count: 0
    .symbol:         _ZN9rocsparseL18bsrxmvn_5x5_kernelILj50EiiiaaiEEvT2_20rocsparse_direction_NS_24const_host_device_scalarIT0_EES1_PKS1_PKT1_SA_S7_PKT3_PKT4_S5_PT5_21rocsparse_index_base_b.kd
    .uniform_work_group_size: 1
    .uses_dynamic_stack: false
    .vgpr_count:     9
    .vgpr_spill_count: 0
    .wavefront_size: 32
    .workgroup_processor_mode: 1
  - .args:
      - .offset:         0
        .size:           4
        .value_kind:     by_value
      - .offset:         4
        .size:           4
        .value_kind:     by_value
      - .offset:         8
        .size:           8
        .value_kind:     by_value
      - .offset:         16
        .size:           4
        .value_kind:     by_value
      - .actual_access:  read_only
        .address_space:  global
        .offset:         24
        .size:           8
        .value_kind:     global_buffer
      - .actual_access:  read_only
        .address_space:  global
        .offset:         32
        .size:           8
        .value_kind:     global_buffer
      - .actual_access:  read_only
        .address_space:  global
        .offset:         40
        .size:           8
        .value_kind:     global_buffer
      - .actual_access:  read_only
        .address_space:  global
        .offset:         48
        .size:           8
        .value_kind:     global_buffer
      - .actual_access:  read_only
        .address_space:  global
        .offset:         56
        .size:           8
        .value_kind:     global_buffer
      - .actual_access:  read_only
        .address_space:  global
        .offset:         64
        .size:           8
        .value_kind:     global_buffer
      - .offset:         72
        .size:           8
        .value_kind:     by_value
      - .address_space:  global
        .offset:         80
        .size:           8
        .value_kind:     global_buffer
      - .offset:         88
        .size:           4
        .value_kind:     by_value
      - .offset:         92
        .size:           1
        .value_kind:     by_value
    .group_segment_fixed_size: 200
    .kernarg_segment_align: 8
    .kernarg_segment_size: 96
    .language:       OpenCL C
    .language_version:
      - 2
      - 0
    .max_flat_workgroup_size: 50
    .name:           _ZN9rocsparseL18bsrxmvn_5x5_kernelILj50EiliaaiEEvT2_20rocsparse_direction_NS_24const_host_device_scalarIT0_EES1_PKS1_PKT1_SA_S7_PKT3_PKT4_S5_PT5_21rocsparse_index_base_b
    .private_segment_fixed_size: 0
    .sgpr_count:     23
    .sgpr_spill_count: 0
    .symbol:         _ZN9rocsparseL18bsrxmvn_5x5_kernelILj50EiliaaiEEvT2_20rocsparse_direction_NS_24const_host_device_scalarIT0_EES1_PKS1_PKT1_SA_S7_PKT3_PKT4_S5_PT5_21rocsparse_index_base_b.kd
    .uniform_work_group_size: 1
    .uses_dynamic_stack: false
    .vgpr_count:     12
    .vgpr_spill_count: 0
    .wavefront_size: 32
    .workgroup_processor_mode: 1
  - .args:
      - .offset:         0
        .size:           8
        .value_kind:     by_value
      - .offset:         8
        .size:           4
        .value_kind:     by_value
      - .offset:         16
        .size:           8
        .value_kind:     by_value
      - .offset:         24
        .size:           8
        .value_kind:     by_value
      - .actual_access:  read_only
        .address_space:  global
        .offset:         32
        .size:           8
        .value_kind:     global_buffer
      - .actual_access:  read_only
        .address_space:  global
        .offset:         40
        .size:           8
        .value_kind:     global_buffer
      - .actual_access:  read_only
        .address_space:  global
        .offset:         48
        .size:           8
        .value_kind:     global_buffer
      - .actual_access:  read_only
        .address_space:  global
        .offset:         56
        .size:           8
        .value_kind:     global_buffer
      - .actual_access:  read_only
        .address_space:  global
        .offset:         64
        .size:           8
        .value_kind:     global_buffer
      - .actual_access:  read_only
        .address_space:  global
        .offset:         72
        .size:           8
        .value_kind:     global_buffer
      - .offset:         80
        .size:           8
        .value_kind:     by_value
      - .address_space:  global
        .offset:         88
        .size:           8
        .value_kind:     global_buffer
      - .offset:         96
        .size:           4
        .value_kind:     by_value
      - .offset:         100
        .size:           1
        .value_kind:     by_value
    .group_segment_fixed_size: 200
    .kernarg_segment_align: 8
    .kernarg_segment_size: 104
    .language:       OpenCL C
    .language_version:
      - 2
      - 0
    .max_flat_workgroup_size: 50
    .name:           _ZN9rocsparseL18bsrxmvn_5x5_kernelILj50EillaaiEEvT2_20rocsparse_direction_NS_24const_host_device_scalarIT0_EES1_PKS1_PKT1_SA_S7_PKT3_PKT4_S5_PT5_21rocsparse_index_base_b
    .private_segment_fixed_size: 0
    .sgpr_count:     24
    .sgpr_spill_count: 0
    .symbol:         _ZN9rocsparseL18bsrxmvn_5x5_kernelILj50EillaaiEEvT2_20rocsparse_direction_NS_24const_host_device_scalarIT0_EES1_PKS1_PKT1_SA_S7_PKT3_PKT4_S5_PT5_21rocsparse_index_base_b.kd
    .uniform_work_group_size: 1
    .uses_dynamic_stack: false
    .vgpr_count:     14
    .vgpr_spill_count: 0
    .wavefront_size: 32
    .workgroup_processor_mode: 1
  - .args:
      - .offset:         0
        .size:           4
        .value_kind:     by_value
      - .offset:         4
        .size:           4
        .value_kind:     by_value
      - .offset:         8
        .size:           8
        .value_kind:     by_value
      - .offset:         16
        .size:           4
        .value_kind:     by_value
      - .actual_access:  read_only
        .address_space:  global
        .offset:         24
        .size:           8
        .value_kind:     global_buffer
      - .actual_access:  read_only
        .address_space:  global
        .offset:         32
        .size:           8
        .value_kind:     global_buffer
      - .actual_access:  read_only
        .address_space:  global
        .offset:         40
        .size:           8
        .value_kind:     global_buffer
      - .actual_access:  read_only
        .address_space:  global
        .offset:         48
        .size:           8
        .value_kind:     global_buffer
      - .actual_access:  read_only
        .address_space:  global
        .offset:         56
        .size:           8
        .value_kind:     global_buffer
      - .actual_access:  read_only
        .address_space:  global
        .offset:         64
        .size:           8
        .value_kind:     global_buffer
      - .offset:         72
        .size:           8
        .value_kind:     by_value
      - .address_space:  global
        .offset:         80
        .size:           8
        .value_kind:     global_buffer
      - .offset:         88
        .size:           4
        .value_kind:     by_value
      - .offset:         92
        .size:           1
        .value_kind:     by_value
    .group_segment_fixed_size: 200
    .kernarg_segment_align: 8
    .kernarg_segment_size: 96
    .language:       OpenCL C
    .language_version:
      - 2
      - 0
    .max_flat_workgroup_size: 50
    .name:           _ZN9rocsparseL18bsrxmvn_5x5_kernelILj50EfiiaafEEvT2_20rocsparse_direction_NS_24const_host_device_scalarIT0_EES1_PKS1_PKT1_SA_S7_PKT3_PKT4_S5_PT5_21rocsparse_index_base_b
    .private_segment_fixed_size: 0
    .sgpr_count:     18
    .sgpr_spill_count: 0
    .symbol:         _ZN9rocsparseL18bsrxmvn_5x5_kernelILj50EfiiaafEEvT2_20rocsparse_direction_NS_24const_host_device_scalarIT0_EES1_PKS1_PKT1_SA_S7_PKT3_PKT4_S5_PT5_21rocsparse_index_base_b.kd
    .uniform_work_group_size: 1
    .uses_dynamic_stack: false
    .vgpr_count:     9
    .vgpr_spill_count: 0
    .wavefront_size: 32
    .workgroup_processor_mode: 1
  - .args:
      - .offset:         0
        .size:           4
        .value_kind:     by_value
      - .offset:         4
        .size:           4
        .value_kind:     by_value
      - .offset:         8
        .size:           8
        .value_kind:     by_value
      - .offset:         16
        .size:           4
        .value_kind:     by_value
      - .actual_access:  read_only
        .address_space:  global
        .offset:         24
        .size:           8
        .value_kind:     global_buffer
      - .actual_access:  read_only
        .address_space:  global
        .offset:         32
        .size:           8
        .value_kind:     global_buffer
      - .actual_access:  read_only
        .address_space:  global
        .offset:         40
        .size:           8
        .value_kind:     global_buffer
      - .actual_access:  read_only
        .address_space:  global
        .offset:         48
        .size:           8
        .value_kind:     global_buffer
      - .actual_access:  read_only
        .address_space:  global
        .offset:         56
        .size:           8
        .value_kind:     global_buffer
      - .actual_access:  read_only
        .address_space:  global
        .offset:         64
        .size:           8
        .value_kind:     global_buffer
      - .offset:         72
        .size:           8
        .value_kind:     by_value
      - .address_space:  global
        .offset:         80
        .size:           8
        .value_kind:     global_buffer
      - .offset:         88
        .size:           4
        .value_kind:     by_value
      - .offset:         92
        .size:           1
        .value_kind:     by_value
    .group_segment_fixed_size: 200
    .kernarg_segment_align: 8
    .kernarg_segment_size: 96
    .language:       OpenCL C
    .language_version:
      - 2
      - 0
    .max_flat_workgroup_size: 50
    .name:           _ZN9rocsparseL18bsrxmvn_5x5_kernelILj50EfliaafEEvT2_20rocsparse_direction_NS_24const_host_device_scalarIT0_EES1_PKS1_PKT1_SA_S7_PKT3_PKT4_S5_PT5_21rocsparse_index_base_b
    .private_segment_fixed_size: 0
    .sgpr_count:     26
    .sgpr_spill_count: 0
    .symbol:         _ZN9rocsparseL18bsrxmvn_5x5_kernelILj50EfliaafEEvT2_20rocsparse_direction_NS_24const_host_device_scalarIT0_EES1_PKS1_PKT1_SA_S7_PKT3_PKT4_S5_PT5_21rocsparse_index_base_b.kd
    .uniform_work_group_size: 1
    .uses_dynamic_stack: false
    .vgpr_count:     12
    .vgpr_spill_count: 0
    .wavefront_size: 32
    .workgroup_processor_mode: 1
  - .args:
      - .offset:         0
        .size:           8
        .value_kind:     by_value
      - .offset:         8
        .size:           4
        .value_kind:     by_value
      - .offset:         16
        .size:           8
        .value_kind:     by_value
      - .offset:         24
        .size:           8
        .value_kind:     by_value
      - .actual_access:  read_only
        .address_space:  global
        .offset:         32
        .size:           8
        .value_kind:     global_buffer
      - .actual_access:  read_only
        .address_space:  global
        .offset:         40
        .size:           8
        .value_kind:     global_buffer
      - .actual_access:  read_only
        .address_space:  global
        .offset:         48
        .size:           8
        .value_kind:     global_buffer
      - .actual_access:  read_only
        .address_space:  global
        .offset:         56
        .size:           8
        .value_kind:     global_buffer
      - .actual_access:  read_only
        .address_space:  global
        .offset:         64
        .size:           8
        .value_kind:     global_buffer
      - .actual_access:  read_only
        .address_space:  global
        .offset:         72
        .size:           8
        .value_kind:     global_buffer
      - .offset:         80
        .size:           8
        .value_kind:     by_value
      - .address_space:  global
        .offset:         88
        .size:           8
        .value_kind:     global_buffer
      - .offset:         96
        .size:           4
        .value_kind:     by_value
      - .offset:         100
        .size:           1
        .value_kind:     by_value
    .group_segment_fixed_size: 200
    .kernarg_segment_align: 8
    .kernarg_segment_size: 104
    .language:       OpenCL C
    .language_version:
      - 2
      - 0
    .max_flat_workgroup_size: 50
    .name:           _ZN9rocsparseL18bsrxmvn_5x5_kernelILj50EfllaafEEvT2_20rocsparse_direction_NS_24const_host_device_scalarIT0_EES1_PKS1_PKT1_SA_S7_PKT3_PKT4_S5_PT5_21rocsparse_index_base_b
    .private_segment_fixed_size: 0
    .sgpr_count:     26
    .sgpr_spill_count: 0
    .symbol:         _ZN9rocsparseL18bsrxmvn_5x5_kernelILj50EfllaafEEvT2_20rocsparse_direction_NS_24const_host_device_scalarIT0_EES1_PKS1_PKT1_SA_S7_PKT3_PKT4_S5_PT5_21rocsparse_index_base_b.kd
    .uniform_work_group_size: 1
    .uses_dynamic_stack: false
    .vgpr_count:     14
    .vgpr_spill_count: 0
    .wavefront_size: 32
    .workgroup_processor_mode: 1
  - .args:
      - .offset:         0
        .size:           4
        .value_kind:     by_value
      - .offset:         4
        .size:           4
        .value_kind:     by_value
      - .offset:         8
        .size:           8
        .value_kind:     by_value
      - .offset:         16
        .size:           4
        .value_kind:     by_value
      - .actual_access:  read_only
        .address_space:  global
        .offset:         24
        .size:           8
        .value_kind:     global_buffer
      - .actual_access:  read_only
        .address_space:  global
        .offset:         32
        .size:           8
        .value_kind:     global_buffer
      - .actual_access:  read_only
        .address_space:  global
        .offset:         40
        .size:           8
        .value_kind:     global_buffer
      - .actual_access:  read_only
        .address_space:  global
        .offset:         48
        .size:           8
        .value_kind:     global_buffer
      - .actual_access:  read_only
        .address_space:  global
        .offset:         56
        .size:           8
        .value_kind:     global_buffer
      - .actual_access:  read_only
        .address_space:  global
        .offset:         64
        .size:           8
        .value_kind:     global_buffer
      - .offset:         72
        .size:           8
        .value_kind:     by_value
      - .address_space:  global
        .offset:         80
        .size:           8
        .value_kind:     global_buffer
      - .offset:         88
        .size:           4
        .value_kind:     by_value
      - .offset:         92
        .size:           1
        .value_kind:     by_value
    .group_segment_fixed_size: 200
    .kernarg_segment_align: 8
    .kernarg_segment_size: 96
    .language:       OpenCL C
    .language_version:
      - 2
      - 0
    .max_flat_workgroup_size: 50
    .name:           _ZN9rocsparseL18bsrxmvn_5x5_kernelILj50EfiiDF16_DF16_fEEvT2_20rocsparse_direction_NS_24const_host_device_scalarIT0_EES1_PKS1_PKT1_SA_S7_PKT3_PKT4_S5_PT5_21rocsparse_index_base_b
    .private_segment_fixed_size: 0
    .sgpr_count:     18
    .sgpr_spill_count: 0
    .symbol:         _ZN9rocsparseL18bsrxmvn_5x5_kernelILj50EfiiDF16_DF16_fEEvT2_20rocsparse_direction_NS_24const_host_device_scalarIT0_EES1_PKS1_PKT1_SA_S7_PKT3_PKT4_S5_PT5_21rocsparse_index_base_b.kd
    .uniform_work_group_size: 1
    .uses_dynamic_stack: false
    .vgpr_count:     11
    .vgpr_spill_count: 0
    .wavefront_size: 32
    .workgroup_processor_mode: 1
  - .args:
      - .offset:         0
        .size:           4
        .value_kind:     by_value
      - .offset:         4
        .size:           4
        .value_kind:     by_value
      - .offset:         8
        .size:           8
        .value_kind:     by_value
      - .offset:         16
        .size:           4
        .value_kind:     by_value
      - .actual_access:  read_only
        .address_space:  global
        .offset:         24
        .size:           8
        .value_kind:     global_buffer
      - .actual_access:  read_only
        .address_space:  global
        .offset:         32
        .size:           8
        .value_kind:     global_buffer
      - .actual_access:  read_only
        .address_space:  global
        .offset:         40
        .size:           8
        .value_kind:     global_buffer
      - .actual_access:  read_only
        .address_space:  global
        .offset:         48
        .size:           8
        .value_kind:     global_buffer
      - .actual_access:  read_only
        .address_space:  global
        .offset:         56
        .size:           8
        .value_kind:     global_buffer
      - .actual_access:  read_only
        .address_space:  global
        .offset:         64
        .size:           8
        .value_kind:     global_buffer
      - .offset:         72
        .size:           8
        .value_kind:     by_value
      - .address_space:  global
        .offset:         80
        .size:           8
        .value_kind:     global_buffer
      - .offset:         88
        .size:           4
        .value_kind:     by_value
      - .offset:         92
        .size:           1
        .value_kind:     by_value
    .group_segment_fixed_size: 200
    .kernarg_segment_align: 8
    .kernarg_segment_size: 96
    .language:       OpenCL C
    .language_version:
      - 2
      - 0
    .max_flat_workgroup_size: 50
    .name:           _ZN9rocsparseL18bsrxmvn_5x5_kernelILj50EfliDF16_DF16_fEEvT2_20rocsparse_direction_NS_24const_host_device_scalarIT0_EES1_PKS1_PKT1_SA_S7_PKT3_PKT4_S5_PT5_21rocsparse_index_base_b
    .private_segment_fixed_size: 0
    .sgpr_count:     26
    .sgpr_spill_count: 0
    .symbol:         _ZN9rocsparseL18bsrxmvn_5x5_kernelILj50EfliDF16_DF16_fEEvT2_20rocsparse_direction_NS_24const_host_device_scalarIT0_EES1_PKS1_PKT1_SA_S7_PKT3_PKT4_S5_PT5_21rocsparse_index_base_b.kd
    .uniform_work_group_size: 1
    .uses_dynamic_stack: false
    .vgpr_count:     12
    .vgpr_spill_count: 0
    .wavefront_size: 32
    .workgroup_processor_mode: 1
  - .args:
      - .offset:         0
        .size:           8
        .value_kind:     by_value
      - .offset:         8
        .size:           4
        .value_kind:     by_value
      - .offset:         16
        .size:           8
        .value_kind:     by_value
      - .offset:         24
        .size:           8
        .value_kind:     by_value
      - .actual_access:  read_only
        .address_space:  global
        .offset:         32
        .size:           8
        .value_kind:     global_buffer
      - .actual_access:  read_only
        .address_space:  global
        .offset:         40
        .size:           8
        .value_kind:     global_buffer
      - .actual_access:  read_only
        .address_space:  global
        .offset:         48
        .size:           8
        .value_kind:     global_buffer
      - .actual_access:  read_only
        .address_space:  global
        .offset:         56
        .size:           8
        .value_kind:     global_buffer
      - .actual_access:  read_only
        .address_space:  global
        .offset:         64
        .size:           8
        .value_kind:     global_buffer
      - .actual_access:  read_only
        .address_space:  global
        .offset:         72
        .size:           8
        .value_kind:     global_buffer
      - .offset:         80
        .size:           8
        .value_kind:     by_value
      - .address_space:  global
        .offset:         88
        .size:           8
        .value_kind:     global_buffer
      - .offset:         96
        .size:           4
        .value_kind:     by_value
      - .offset:         100
        .size:           1
        .value_kind:     by_value
    .group_segment_fixed_size: 200
    .kernarg_segment_align: 8
    .kernarg_segment_size: 104
    .language:       OpenCL C
    .language_version:
      - 2
      - 0
    .max_flat_workgroup_size: 50
    .name:           _ZN9rocsparseL18bsrxmvn_5x5_kernelILj50EfllDF16_DF16_fEEvT2_20rocsparse_direction_NS_24const_host_device_scalarIT0_EES1_PKS1_PKT1_SA_S7_PKT3_PKT4_S5_PT5_21rocsparse_index_base_b
    .private_segment_fixed_size: 0
    .sgpr_count:     26
    .sgpr_spill_count: 0
    .symbol:         _ZN9rocsparseL18bsrxmvn_5x5_kernelILj50EfllDF16_DF16_fEEvT2_20rocsparse_direction_NS_24const_host_device_scalarIT0_EES1_PKS1_PKT1_SA_S7_PKT3_PKT4_S5_PT5_21rocsparse_index_base_b.kd
    .uniform_work_group_size: 1
    .uses_dynamic_stack: false
    .vgpr_count:     14
    .vgpr_spill_count: 0
    .wavefront_size: 32
    .workgroup_processor_mode: 1
  - .args:
      - .offset:         0
        .size:           4
        .value_kind:     by_value
      - .offset:         4
        .size:           4
        .value_kind:     by_value
      - .offset:         8
        .size:           8
        .value_kind:     by_value
      - .offset:         16
        .size:           4
        .value_kind:     by_value
      - .actual_access:  read_only
        .address_space:  global
        .offset:         24
        .size:           8
        .value_kind:     global_buffer
      - .actual_access:  read_only
        .address_space:  global
        .offset:         32
        .size:           8
        .value_kind:     global_buffer
      - .actual_access:  read_only
        .address_space:  global
        .offset:         40
        .size:           8
        .value_kind:     global_buffer
      - .actual_access:  read_only
        .address_space:  global
        .offset:         48
        .size:           8
        .value_kind:     global_buffer
      - .actual_access:  read_only
        .address_space:  global
        .offset:         56
        .size:           8
        .value_kind:     global_buffer
      - .actual_access:  read_only
        .address_space:  global
        .offset:         64
        .size:           8
        .value_kind:     global_buffer
      - .offset:         72
        .size:           8
        .value_kind:     by_value
      - .address_space:  global
        .offset:         80
        .size:           8
        .value_kind:     global_buffer
      - .offset:         88
        .size:           4
        .value_kind:     by_value
      - .offset:         92
        .size:           1
        .value_kind:     by_value
    .group_segment_fixed_size: 200
    .kernarg_segment_align: 8
    .kernarg_segment_size: 96
    .language:       OpenCL C
    .language_version:
      - 2
      - 0
    .max_flat_workgroup_size: 50
    .name:           _ZN9rocsparseL18bsrxmvn_5x5_kernelILj50Efii18rocsparse_bfloat16S1_fEEvT2_20rocsparse_direction_NS_24const_host_device_scalarIT0_EES2_PKS2_PKT1_SB_S8_PKT3_PKT4_S6_PT5_21rocsparse_index_base_b
    .private_segment_fixed_size: 0
    .sgpr_count:     18
    .sgpr_spill_count: 0
    .symbol:         _ZN9rocsparseL18bsrxmvn_5x5_kernelILj50Efii18rocsparse_bfloat16S1_fEEvT2_20rocsparse_direction_NS_24const_host_device_scalarIT0_EES2_PKS2_PKT1_SB_S8_PKT3_PKT4_S6_PT5_21rocsparse_index_base_b.kd
    .uniform_work_group_size: 1
    .uses_dynamic_stack: false
    .vgpr_count:     11
    .vgpr_spill_count: 0
    .wavefront_size: 32
    .workgroup_processor_mode: 1
  - .args:
      - .offset:         0
        .size:           4
        .value_kind:     by_value
      - .offset:         4
        .size:           4
        .value_kind:     by_value
      - .offset:         8
        .size:           8
        .value_kind:     by_value
      - .offset:         16
        .size:           4
        .value_kind:     by_value
      - .actual_access:  read_only
        .address_space:  global
        .offset:         24
        .size:           8
        .value_kind:     global_buffer
      - .actual_access:  read_only
        .address_space:  global
        .offset:         32
        .size:           8
        .value_kind:     global_buffer
      - .actual_access:  read_only
        .address_space:  global
        .offset:         40
        .size:           8
        .value_kind:     global_buffer
      - .actual_access:  read_only
        .address_space:  global
        .offset:         48
        .size:           8
        .value_kind:     global_buffer
      - .actual_access:  read_only
        .address_space:  global
        .offset:         56
        .size:           8
        .value_kind:     global_buffer
      - .actual_access:  read_only
        .address_space:  global
        .offset:         64
        .size:           8
        .value_kind:     global_buffer
      - .offset:         72
        .size:           8
        .value_kind:     by_value
      - .address_space:  global
        .offset:         80
        .size:           8
        .value_kind:     global_buffer
      - .offset:         88
        .size:           4
        .value_kind:     by_value
      - .offset:         92
        .size:           1
        .value_kind:     by_value
    .group_segment_fixed_size: 200
    .kernarg_segment_align: 8
    .kernarg_segment_size: 96
    .language:       OpenCL C
    .language_version:
      - 2
      - 0
    .max_flat_workgroup_size: 50
    .name:           _ZN9rocsparseL18bsrxmvn_5x5_kernelILj50Efli18rocsparse_bfloat16S1_fEEvT2_20rocsparse_direction_NS_24const_host_device_scalarIT0_EES2_PKS2_PKT1_SB_S8_PKT3_PKT4_S6_PT5_21rocsparse_index_base_b
    .private_segment_fixed_size: 0
    .sgpr_count:     26
    .sgpr_spill_count: 0
    .symbol:         _ZN9rocsparseL18bsrxmvn_5x5_kernelILj50Efli18rocsparse_bfloat16S1_fEEvT2_20rocsparse_direction_NS_24const_host_device_scalarIT0_EES2_PKS2_PKT1_SB_S8_PKT3_PKT4_S6_PT5_21rocsparse_index_base_b.kd
    .uniform_work_group_size: 1
    .uses_dynamic_stack: false
    .vgpr_count:     12
    .vgpr_spill_count: 0
    .wavefront_size: 32
    .workgroup_processor_mode: 1
  - .args:
      - .offset:         0
        .size:           8
        .value_kind:     by_value
      - .offset:         8
        .size:           4
        .value_kind:     by_value
      - .offset:         16
        .size:           8
        .value_kind:     by_value
      - .offset:         24
        .size:           8
        .value_kind:     by_value
      - .actual_access:  read_only
        .address_space:  global
        .offset:         32
        .size:           8
        .value_kind:     global_buffer
      - .actual_access:  read_only
        .address_space:  global
        .offset:         40
        .size:           8
        .value_kind:     global_buffer
      - .actual_access:  read_only
        .address_space:  global
        .offset:         48
        .size:           8
        .value_kind:     global_buffer
      - .actual_access:  read_only
        .address_space:  global
        .offset:         56
        .size:           8
        .value_kind:     global_buffer
      - .actual_access:  read_only
        .address_space:  global
        .offset:         64
        .size:           8
        .value_kind:     global_buffer
      - .actual_access:  read_only
        .address_space:  global
        .offset:         72
        .size:           8
        .value_kind:     global_buffer
      - .offset:         80
        .size:           8
        .value_kind:     by_value
      - .address_space:  global
        .offset:         88
        .size:           8
        .value_kind:     global_buffer
      - .offset:         96
        .size:           4
        .value_kind:     by_value
      - .offset:         100
        .size:           1
        .value_kind:     by_value
    .group_segment_fixed_size: 200
    .kernarg_segment_align: 8
    .kernarg_segment_size: 104
    .language:       OpenCL C
    .language_version:
      - 2
      - 0
    .max_flat_workgroup_size: 50
    .name:           _ZN9rocsparseL18bsrxmvn_5x5_kernelILj50Efll18rocsparse_bfloat16S1_fEEvT2_20rocsparse_direction_NS_24const_host_device_scalarIT0_EES2_PKS2_PKT1_SB_S8_PKT3_PKT4_S6_PT5_21rocsparse_index_base_b
    .private_segment_fixed_size: 0
    .sgpr_count:     26
    .sgpr_spill_count: 0
    .symbol:         _ZN9rocsparseL18bsrxmvn_5x5_kernelILj50Efll18rocsparse_bfloat16S1_fEEvT2_20rocsparse_direction_NS_24const_host_device_scalarIT0_EES2_PKS2_PKT1_SB_S8_PKT3_PKT4_S6_PT5_21rocsparse_index_base_b.kd
    .uniform_work_group_size: 1
    .uses_dynamic_stack: false
    .vgpr_count:     14
    .vgpr_spill_count: 0
    .wavefront_size: 32
    .workgroup_processor_mode: 1
  - .args:
      - .offset:         0
        .size:           4
        .value_kind:     by_value
      - .offset:         4
        .size:           4
        .value_kind:     by_value
      - .offset:         8
        .size:           8
        .value_kind:     by_value
      - .offset:         16
        .size:           4
        .value_kind:     by_value
      - .actual_access:  read_only
        .address_space:  global
        .offset:         24
        .size:           8
        .value_kind:     global_buffer
      - .actual_access:  read_only
        .address_space:  global
        .offset:         32
        .size:           8
        .value_kind:     global_buffer
      - .actual_access:  read_only
        .address_space:  global
        .offset:         40
        .size:           8
        .value_kind:     global_buffer
      - .actual_access:  read_only
        .address_space:  global
        .offset:         48
        .size:           8
        .value_kind:     global_buffer
      - .actual_access:  read_only
        .address_space:  global
        .offset:         56
        .size:           8
        .value_kind:     global_buffer
      - .actual_access:  read_only
        .address_space:  global
        .offset:         64
        .size:           8
        .value_kind:     global_buffer
      - .offset:         72
        .size:           8
        .value_kind:     by_value
      - .address_space:  global
        .offset:         80
        .size:           8
        .value_kind:     global_buffer
      - .offset:         88
        .size:           4
        .value_kind:     by_value
      - .offset:         92
        .size:           1
        .value_kind:     by_value
    .group_segment_fixed_size: 400
    .kernarg_segment_align: 8
    .kernarg_segment_size: 96
    .language:       OpenCL C
    .language_version:
      - 2
      - 0
    .max_flat_workgroup_size: 50
    .name:           _ZN9rocsparseL18bsrxmvn_5x5_kernelILj50E21rocsparse_complex_numIfEiifS2_S2_EEvT2_20rocsparse_direction_NS_24const_host_device_scalarIT0_EES3_PKS3_PKT1_SC_S9_PKT3_PKT4_S7_PT5_21rocsparse_index_base_b
    .private_segment_fixed_size: 0
    .sgpr_count:     16
    .sgpr_spill_count: 0
    .symbol:         _ZN9rocsparseL18bsrxmvn_5x5_kernelILj50E21rocsparse_complex_numIfEiifS2_S2_EEvT2_20rocsparse_direction_NS_24const_host_device_scalarIT0_EES3_PKS3_PKT1_SC_S9_PKT3_PKT4_S7_PT5_21rocsparse_index_base_b.kd
    .uniform_work_group_size: 1
    .uses_dynamic_stack: false
    .vgpr_count:     16
    .vgpr_spill_count: 0
    .wavefront_size: 32
    .workgroup_processor_mode: 1
  - .args:
      - .offset:         0
        .size:           4
        .value_kind:     by_value
      - .offset:         4
        .size:           4
        .value_kind:     by_value
      - .offset:         8
        .size:           8
        .value_kind:     by_value
      - .offset:         16
        .size:           4
        .value_kind:     by_value
      - .actual_access:  read_only
        .address_space:  global
        .offset:         24
        .size:           8
        .value_kind:     global_buffer
      - .actual_access:  read_only
        .address_space:  global
        .offset:         32
        .size:           8
        .value_kind:     global_buffer
      - .actual_access:  read_only
        .address_space:  global
        .offset:         40
        .size:           8
        .value_kind:     global_buffer
      - .actual_access:  read_only
        .address_space:  global
        .offset:         48
        .size:           8
        .value_kind:     global_buffer
      - .actual_access:  read_only
        .address_space:  global
        .offset:         56
        .size:           8
        .value_kind:     global_buffer
      - .actual_access:  read_only
        .address_space:  global
        .offset:         64
        .size:           8
        .value_kind:     global_buffer
      - .offset:         72
        .size:           8
        .value_kind:     by_value
      - .address_space:  global
        .offset:         80
        .size:           8
        .value_kind:     global_buffer
      - .offset:         88
        .size:           4
        .value_kind:     by_value
      - .offset:         92
        .size:           1
        .value_kind:     by_value
    .group_segment_fixed_size: 400
    .kernarg_segment_align: 8
    .kernarg_segment_size: 96
    .language:       OpenCL C
    .language_version:
      - 2
      - 0
    .max_flat_workgroup_size: 50
    .name:           _ZN9rocsparseL18bsrxmvn_5x5_kernelILj50E21rocsparse_complex_numIfElifS2_S2_EEvT2_20rocsparse_direction_NS_24const_host_device_scalarIT0_EES3_PKS3_PKT1_SC_S9_PKT3_PKT4_S7_PT5_21rocsparse_index_base_b
    .private_segment_fixed_size: 0
    .sgpr_count:     22
    .sgpr_spill_count: 0
    .symbol:         _ZN9rocsparseL18bsrxmvn_5x5_kernelILj50E21rocsparse_complex_numIfElifS2_S2_EEvT2_20rocsparse_direction_NS_24const_host_device_scalarIT0_EES3_PKS3_PKT1_SC_S9_PKT3_PKT4_S7_PT5_21rocsparse_index_base_b.kd
    .uniform_work_group_size: 1
    .uses_dynamic_stack: false
    .vgpr_count:     17
    .vgpr_spill_count: 0
    .wavefront_size: 32
    .workgroup_processor_mode: 1
  - .args:
      - .offset:         0
        .size:           8
        .value_kind:     by_value
      - .offset:         8
        .size:           4
        .value_kind:     by_value
      - .offset:         16
        .size:           8
        .value_kind:     by_value
      - .offset:         24
        .size:           8
        .value_kind:     by_value
      - .actual_access:  read_only
        .address_space:  global
        .offset:         32
        .size:           8
        .value_kind:     global_buffer
      - .actual_access:  read_only
        .address_space:  global
        .offset:         40
        .size:           8
        .value_kind:     global_buffer
      - .actual_access:  read_only
        .address_space:  global
        .offset:         48
        .size:           8
        .value_kind:     global_buffer
      - .actual_access:  read_only
        .address_space:  global
        .offset:         56
        .size:           8
        .value_kind:     global_buffer
      - .actual_access:  read_only
        .address_space:  global
        .offset:         64
        .size:           8
        .value_kind:     global_buffer
      - .actual_access:  read_only
        .address_space:  global
        .offset:         72
        .size:           8
        .value_kind:     global_buffer
      - .offset:         80
        .size:           8
        .value_kind:     by_value
      - .address_space:  global
        .offset:         88
        .size:           8
        .value_kind:     global_buffer
      - .offset:         96
        .size:           4
        .value_kind:     by_value
      - .offset:         100
        .size:           1
        .value_kind:     by_value
    .group_segment_fixed_size: 400
    .kernarg_segment_align: 8
    .kernarg_segment_size: 104
    .language:       OpenCL C
    .language_version:
      - 2
      - 0
    .max_flat_workgroup_size: 50
    .name:           _ZN9rocsparseL18bsrxmvn_5x5_kernelILj50E21rocsparse_complex_numIfEllfS2_S2_EEvT2_20rocsparse_direction_NS_24const_host_device_scalarIT0_EES3_PKS3_PKT1_SC_S9_PKT3_PKT4_S7_PT5_21rocsparse_index_base_b
    .private_segment_fixed_size: 0
    .sgpr_count:     22
    .sgpr_spill_count: 0
    .symbol:         _ZN9rocsparseL18bsrxmvn_5x5_kernelILj50E21rocsparse_complex_numIfEllfS2_S2_EEvT2_20rocsparse_direction_NS_24const_host_device_scalarIT0_EES3_PKS3_PKT1_SC_S9_PKT3_PKT4_S7_PT5_21rocsparse_index_base_b.kd
    .uniform_work_group_size: 1
    .uses_dynamic_stack: false
    .vgpr_count:     19
    .vgpr_spill_count: 0
    .wavefront_size: 32
    .workgroup_processor_mode: 1
  - .args:
      - .offset:         0
        .size:           4
        .value_kind:     by_value
      - .offset:         4
        .size:           4
        .value_kind:     by_value
      - .offset:         8
        .size:           16
        .value_kind:     by_value
      - .offset:         24
        .size:           4
        .value_kind:     by_value
      - .actual_access:  read_only
        .address_space:  global
        .offset:         32
        .size:           8
        .value_kind:     global_buffer
      - .actual_access:  read_only
        .address_space:  global
        .offset:         40
        .size:           8
        .value_kind:     global_buffer
      - .actual_access:  read_only
        .address_space:  global
        .offset:         48
        .size:           8
        .value_kind:     global_buffer
      - .actual_access:  read_only
        .address_space:  global
        .offset:         56
        .size:           8
        .value_kind:     global_buffer
      - .actual_access:  read_only
        .address_space:  global
        .offset:         64
        .size:           8
        .value_kind:     global_buffer
      - .actual_access:  read_only
        .address_space:  global
        .offset:         72
        .size:           8
        .value_kind:     global_buffer
      - .offset:         80
        .size:           16
        .value_kind:     by_value
      - .address_space:  global
        .offset:         96
        .size:           8
        .value_kind:     global_buffer
      - .offset:         104
        .size:           4
        .value_kind:     by_value
      - .offset:         108
        .size:           1
        .value_kind:     by_value
    .group_segment_fixed_size: 800
    .kernarg_segment_align: 8
    .kernarg_segment_size: 112
    .language:       OpenCL C
    .language_version:
      - 2
      - 0
    .max_flat_workgroup_size: 50
    .name:           _ZN9rocsparseL18bsrxmvn_5x5_kernelILj50E21rocsparse_complex_numIdEiidS2_S2_EEvT2_20rocsparse_direction_NS_24const_host_device_scalarIT0_EES3_PKS3_PKT1_SC_S9_PKT3_PKT4_S7_PT5_21rocsparse_index_base_b
    .private_segment_fixed_size: 0
    .sgpr_count:     17
    .sgpr_spill_count: 0
    .symbol:         _ZN9rocsparseL18bsrxmvn_5x5_kernelILj50E21rocsparse_complex_numIdEiidS2_S2_EEvT2_20rocsparse_direction_NS_24const_host_device_scalarIT0_EES3_PKS3_PKT1_SC_S9_PKT3_PKT4_S7_PT5_21rocsparse_index_base_b.kd
    .uniform_work_group_size: 1
    .uses_dynamic_stack: false
    .vgpr_count:     26
    .vgpr_spill_count: 0
    .wavefront_size: 32
    .workgroup_processor_mode: 1
  - .args:
      - .offset:         0
        .size:           4
        .value_kind:     by_value
      - .offset:         4
        .size:           4
        .value_kind:     by_value
      - .offset:         8
        .size:           16
        .value_kind:     by_value
      - .offset:         24
        .size:           4
        .value_kind:     by_value
      - .actual_access:  read_only
        .address_space:  global
        .offset:         32
        .size:           8
        .value_kind:     global_buffer
      - .actual_access:  read_only
        .address_space:  global
        .offset:         40
        .size:           8
        .value_kind:     global_buffer
      - .actual_access:  read_only
        .address_space:  global
        .offset:         48
        .size:           8
        .value_kind:     global_buffer
      - .actual_access:  read_only
        .address_space:  global
        .offset:         56
        .size:           8
        .value_kind:     global_buffer
      - .actual_access:  read_only
        .address_space:  global
        .offset:         64
        .size:           8
        .value_kind:     global_buffer
      - .actual_access:  read_only
        .address_space:  global
        .offset:         72
        .size:           8
        .value_kind:     global_buffer
      - .offset:         80
        .size:           16
        .value_kind:     by_value
      - .address_space:  global
        .offset:         96
        .size:           8
        .value_kind:     global_buffer
      - .offset:         104
        .size:           4
        .value_kind:     by_value
      - .offset:         108
        .size:           1
        .value_kind:     by_value
    .group_segment_fixed_size: 800
    .kernarg_segment_align: 8
    .kernarg_segment_size: 112
    .language:       OpenCL C
    .language_version:
      - 2
      - 0
    .max_flat_workgroup_size: 50
    .name:           _ZN9rocsparseL18bsrxmvn_5x5_kernelILj50E21rocsparse_complex_numIdElidS2_S2_EEvT2_20rocsparse_direction_NS_24const_host_device_scalarIT0_EES3_PKS3_PKT1_SC_S9_PKT3_PKT4_S7_PT5_21rocsparse_index_base_b
    .private_segment_fixed_size: 0
    .sgpr_count:     22
    .sgpr_spill_count: 0
    .symbol:         _ZN9rocsparseL18bsrxmvn_5x5_kernelILj50E21rocsparse_complex_numIdElidS2_S2_EEvT2_20rocsparse_direction_NS_24const_host_device_scalarIT0_EES3_PKS3_PKT1_SC_S9_PKT3_PKT4_S7_PT5_21rocsparse_index_base_b.kd
    .uniform_work_group_size: 1
    .uses_dynamic_stack: false
    .vgpr_count:     26
    .vgpr_spill_count: 0
    .wavefront_size: 32
    .workgroup_processor_mode: 1
  - .args:
      - .offset:         0
        .size:           8
        .value_kind:     by_value
      - .offset:         8
        .size:           4
        .value_kind:     by_value
      - .offset:         16
        .size:           16
        .value_kind:     by_value
      - .offset:         32
        .size:           8
        .value_kind:     by_value
      - .actual_access:  read_only
        .address_space:  global
        .offset:         40
        .size:           8
        .value_kind:     global_buffer
      - .actual_access:  read_only
        .address_space:  global
        .offset:         48
        .size:           8
        .value_kind:     global_buffer
      - .actual_access:  read_only
        .address_space:  global
        .offset:         56
        .size:           8
        .value_kind:     global_buffer
      - .actual_access:  read_only
        .address_space:  global
        .offset:         64
        .size:           8
        .value_kind:     global_buffer
      - .actual_access:  read_only
        .address_space:  global
        .offset:         72
        .size:           8
        .value_kind:     global_buffer
      - .actual_access:  read_only
        .address_space:  global
        .offset:         80
        .size:           8
        .value_kind:     global_buffer
      - .offset:         88
        .size:           16
        .value_kind:     by_value
      - .address_space:  global
        .offset:         104
        .size:           8
        .value_kind:     global_buffer
      - .offset:         112
        .size:           4
        .value_kind:     by_value
      - .offset:         116
        .size:           1
        .value_kind:     by_value
    .group_segment_fixed_size: 800
    .kernarg_segment_align: 8
    .kernarg_segment_size: 120
    .language:       OpenCL C
    .language_version:
      - 2
      - 0
    .max_flat_workgroup_size: 50
    .name:           _ZN9rocsparseL18bsrxmvn_5x5_kernelILj50E21rocsparse_complex_numIdElldS2_S2_EEvT2_20rocsparse_direction_NS_24const_host_device_scalarIT0_EES3_PKS3_PKT1_SC_S9_PKT3_PKT4_S7_PT5_21rocsparse_index_base_b
    .private_segment_fixed_size: 0
    .sgpr_count:     22
    .sgpr_spill_count: 0
    .symbol:         _ZN9rocsparseL18bsrxmvn_5x5_kernelILj50E21rocsparse_complex_numIdElldS2_S2_EEvT2_20rocsparse_direction_NS_24const_host_device_scalarIT0_EES3_PKS3_PKT1_SC_S9_PKT3_PKT4_S7_PT5_21rocsparse_index_base_b.kd
    .uniform_work_group_size: 1
    .uses_dynamic_stack: false
    .vgpr_count:     28
    .vgpr_spill_count: 0
    .wavefront_size: 32
    .workgroup_processor_mode: 1
  - .args:
      - .offset:         0
        .size:           4
        .value_kind:     by_value
      - .offset:         4
        .size:           4
        .value_kind:     by_value
      - .offset:         8
        .size:           8
        .value_kind:     by_value
      - .offset:         16
        .size:           4
        .value_kind:     by_value
      - .actual_access:  read_only
        .address_space:  global
        .offset:         24
        .size:           8
        .value_kind:     global_buffer
      - .actual_access:  read_only
        .address_space:  global
        .offset:         32
        .size:           8
        .value_kind:     global_buffer
      - .actual_access:  read_only
        .address_space:  global
        .offset:         40
        .size:           8
        .value_kind:     global_buffer
      - .actual_access:  read_only
        .address_space:  global
        .offset:         48
        .size:           8
        .value_kind:     global_buffer
      - .actual_access:  read_only
        .address_space:  global
        .offset:         56
        .size:           8
        .value_kind:     global_buffer
      - .actual_access:  read_only
        .address_space:  global
        .offset:         64
        .size:           8
        .value_kind:     global_buffer
      - .offset:         72
        .size:           8
        .value_kind:     by_value
      - .address_space:  global
        .offset:         80
        .size:           8
        .value_kind:     global_buffer
      - .offset:         88
        .size:           4
        .value_kind:     by_value
      - .offset:         92
        .size:           1
        .value_kind:     by_value
    .group_segment_fixed_size: 400
    .kernarg_segment_align: 8
    .kernarg_segment_size: 96
    .language:       OpenCL C
    .language_version:
      - 2
      - 0
    .max_flat_workgroup_size: 50
    .name:           _ZN9rocsparseL18bsrxmvn_5x5_kernelILj50EdiifddEEvT2_20rocsparse_direction_NS_24const_host_device_scalarIT0_EES1_PKS1_PKT1_SA_S7_PKT3_PKT4_S5_PT5_21rocsparse_index_base_b
    .private_segment_fixed_size: 0
    .sgpr_count:     16
    .sgpr_spill_count: 0
    .symbol:         _ZN9rocsparseL18bsrxmvn_5x5_kernelILj50EdiifddEEvT2_20rocsparse_direction_NS_24const_host_device_scalarIT0_EES1_PKS1_PKT1_SA_S7_PKT3_PKT4_S5_PT5_21rocsparse_index_base_b.kd
    .uniform_work_group_size: 1
    .uses_dynamic_stack: false
    .vgpr_count:     17
    .vgpr_spill_count: 0
    .wavefront_size: 32
    .workgroup_processor_mode: 1
  - .args:
      - .offset:         0
        .size:           4
        .value_kind:     by_value
      - .offset:         4
        .size:           4
        .value_kind:     by_value
      - .offset:         8
        .size:           8
        .value_kind:     by_value
      - .offset:         16
        .size:           4
        .value_kind:     by_value
      - .actual_access:  read_only
        .address_space:  global
        .offset:         24
        .size:           8
        .value_kind:     global_buffer
      - .actual_access:  read_only
        .address_space:  global
        .offset:         32
        .size:           8
        .value_kind:     global_buffer
      - .actual_access:  read_only
        .address_space:  global
        .offset:         40
        .size:           8
        .value_kind:     global_buffer
      - .actual_access:  read_only
        .address_space:  global
        .offset:         48
        .size:           8
        .value_kind:     global_buffer
      - .actual_access:  read_only
        .address_space:  global
        .offset:         56
        .size:           8
        .value_kind:     global_buffer
      - .actual_access:  read_only
        .address_space:  global
        .offset:         64
        .size:           8
        .value_kind:     global_buffer
      - .offset:         72
        .size:           8
        .value_kind:     by_value
      - .address_space:  global
        .offset:         80
        .size:           8
        .value_kind:     global_buffer
      - .offset:         88
        .size:           4
        .value_kind:     by_value
      - .offset:         92
        .size:           1
        .value_kind:     by_value
    .group_segment_fixed_size: 400
    .kernarg_segment_align: 8
    .kernarg_segment_size: 96
    .language:       OpenCL C
    .language_version:
      - 2
      - 0
    .max_flat_workgroup_size: 50
    .name:           _ZN9rocsparseL18bsrxmvn_5x5_kernelILj50EdlifddEEvT2_20rocsparse_direction_NS_24const_host_device_scalarIT0_EES1_PKS1_PKT1_SA_S7_PKT3_PKT4_S5_PT5_21rocsparse_index_base_b
    .private_segment_fixed_size: 0
    .sgpr_count:     22
    .sgpr_spill_count: 0
    .symbol:         _ZN9rocsparseL18bsrxmvn_5x5_kernelILj50EdlifddEEvT2_20rocsparse_direction_NS_24const_host_device_scalarIT0_EES1_PKS1_PKT1_SA_S7_PKT3_PKT4_S5_PT5_21rocsparse_index_base_b.kd
    .uniform_work_group_size: 1
    .uses_dynamic_stack: false
    .vgpr_count:     18
    .vgpr_spill_count: 0
    .wavefront_size: 32
    .workgroup_processor_mode: 1
  - .args:
      - .offset:         0
        .size:           8
        .value_kind:     by_value
      - .offset:         8
        .size:           4
        .value_kind:     by_value
      - .offset:         16
        .size:           8
        .value_kind:     by_value
      - .offset:         24
        .size:           8
        .value_kind:     by_value
      - .actual_access:  read_only
        .address_space:  global
        .offset:         32
        .size:           8
        .value_kind:     global_buffer
      - .actual_access:  read_only
        .address_space:  global
        .offset:         40
        .size:           8
        .value_kind:     global_buffer
      - .actual_access:  read_only
        .address_space:  global
        .offset:         48
        .size:           8
        .value_kind:     global_buffer
      - .actual_access:  read_only
        .address_space:  global
        .offset:         56
        .size:           8
        .value_kind:     global_buffer
      - .actual_access:  read_only
        .address_space:  global
        .offset:         64
        .size:           8
        .value_kind:     global_buffer
      - .actual_access:  read_only
        .address_space:  global
        .offset:         72
        .size:           8
        .value_kind:     global_buffer
      - .offset:         80
        .size:           8
        .value_kind:     by_value
      - .address_space:  global
        .offset:         88
        .size:           8
        .value_kind:     global_buffer
      - .offset:         96
        .size:           4
        .value_kind:     by_value
      - .offset:         100
        .size:           1
        .value_kind:     by_value
    .group_segment_fixed_size: 400
    .kernarg_segment_align: 8
    .kernarg_segment_size: 104
    .language:       OpenCL C
    .language_version:
      - 2
      - 0
    .max_flat_workgroup_size: 50
    .name:           _ZN9rocsparseL18bsrxmvn_5x5_kernelILj50EdllfddEEvT2_20rocsparse_direction_NS_24const_host_device_scalarIT0_EES1_PKS1_PKT1_SA_S7_PKT3_PKT4_S5_PT5_21rocsparse_index_base_b
    .private_segment_fixed_size: 0
    .sgpr_count:     22
    .sgpr_spill_count: 0
    .symbol:         _ZN9rocsparseL18bsrxmvn_5x5_kernelILj50EdllfddEEvT2_20rocsparse_direction_NS_24const_host_device_scalarIT0_EES1_PKS1_PKT1_SA_S7_PKT3_PKT4_S5_PT5_21rocsparse_index_base_b.kd
    .uniform_work_group_size: 1
    .uses_dynamic_stack: false
    .vgpr_count:     20
    .vgpr_spill_count: 0
    .wavefront_size: 32
    .workgroup_processor_mode: 1
  - .args:
      - .offset:         0
        .size:           4
        .value_kind:     by_value
      - .offset:         4
        .size:           4
        .value_kind:     by_value
      - .offset:         8
        .size:           16
        .value_kind:     by_value
      - .offset:         24
        .size:           4
        .value_kind:     by_value
      - .actual_access:  read_only
        .address_space:  global
        .offset:         32
        .size:           8
        .value_kind:     global_buffer
      - .actual_access:  read_only
        .address_space:  global
        .offset:         40
        .size:           8
        .value_kind:     global_buffer
      - .actual_access:  read_only
        .address_space:  global
        .offset:         48
        .size:           8
        .value_kind:     global_buffer
      - .actual_access:  read_only
        .address_space:  global
        .offset:         56
        .size:           8
        .value_kind:     global_buffer
      - .actual_access:  read_only
        .address_space:  global
        .offset:         64
        .size:           8
        .value_kind:     global_buffer
      - .actual_access:  read_only
        .address_space:  global
        .offset:         72
        .size:           8
        .value_kind:     global_buffer
      - .offset:         80
        .size:           16
        .value_kind:     by_value
      - .address_space:  global
        .offset:         96
        .size:           8
        .value_kind:     global_buffer
      - .offset:         104
        .size:           4
        .value_kind:     by_value
      - .offset:         108
        .size:           1
        .value_kind:     by_value
    .group_segment_fixed_size: 800
    .kernarg_segment_align: 8
    .kernarg_segment_size: 112
    .language:       OpenCL C
    .language_version:
      - 2
      - 0
    .max_flat_workgroup_size: 50
    .name:           _ZN9rocsparseL18bsrxmvn_5x5_kernelILj50E21rocsparse_complex_numIdEiiS1_IfES2_S2_EEvT2_20rocsparse_direction_NS_24const_host_device_scalarIT0_EES4_PKS4_PKT1_SD_SA_PKT3_PKT4_S8_PT5_21rocsparse_index_base_b
    .private_segment_fixed_size: 0
    .sgpr_count:     17
    .sgpr_spill_count: 0
    .symbol:         _ZN9rocsparseL18bsrxmvn_5x5_kernelILj50E21rocsparse_complex_numIdEiiS1_IfES2_S2_EEvT2_20rocsparse_direction_NS_24const_host_device_scalarIT0_EES4_PKS4_PKT1_SD_SA_PKT3_PKT4_S8_PT5_21rocsparse_index_base_b.kd
    .uniform_work_group_size: 1
    .uses_dynamic_stack: false
    .vgpr_count:     26
    .vgpr_spill_count: 0
    .wavefront_size: 32
    .workgroup_processor_mode: 1
  - .args:
      - .offset:         0
        .size:           4
        .value_kind:     by_value
      - .offset:         4
        .size:           4
        .value_kind:     by_value
      - .offset:         8
        .size:           16
        .value_kind:     by_value
      - .offset:         24
        .size:           4
        .value_kind:     by_value
      - .actual_access:  read_only
        .address_space:  global
        .offset:         32
        .size:           8
        .value_kind:     global_buffer
      - .actual_access:  read_only
        .address_space:  global
        .offset:         40
        .size:           8
        .value_kind:     global_buffer
      - .actual_access:  read_only
        .address_space:  global
        .offset:         48
        .size:           8
        .value_kind:     global_buffer
      - .actual_access:  read_only
        .address_space:  global
        .offset:         56
        .size:           8
        .value_kind:     global_buffer
      - .actual_access:  read_only
        .address_space:  global
        .offset:         64
        .size:           8
        .value_kind:     global_buffer
      - .actual_access:  read_only
        .address_space:  global
        .offset:         72
        .size:           8
        .value_kind:     global_buffer
      - .offset:         80
        .size:           16
        .value_kind:     by_value
      - .address_space:  global
        .offset:         96
        .size:           8
        .value_kind:     global_buffer
      - .offset:         104
        .size:           4
        .value_kind:     by_value
      - .offset:         108
        .size:           1
        .value_kind:     by_value
    .group_segment_fixed_size: 800
    .kernarg_segment_align: 8
    .kernarg_segment_size: 112
    .language:       OpenCL C
    .language_version:
      - 2
      - 0
    .max_flat_workgroup_size: 50
    .name:           _ZN9rocsparseL18bsrxmvn_5x5_kernelILj50E21rocsparse_complex_numIdEliS1_IfES2_S2_EEvT2_20rocsparse_direction_NS_24const_host_device_scalarIT0_EES4_PKS4_PKT1_SD_SA_PKT3_PKT4_S8_PT5_21rocsparse_index_base_b
    .private_segment_fixed_size: 0
    .sgpr_count:     22
    .sgpr_spill_count: 0
    .symbol:         _ZN9rocsparseL18bsrxmvn_5x5_kernelILj50E21rocsparse_complex_numIdEliS1_IfES2_S2_EEvT2_20rocsparse_direction_NS_24const_host_device_scalarIT0_EES4_PKS4_PKT1_SD_SA_PKT3_PKT4_S8_PT5_21rocsparse_index_base_b.kd
    .uniform_work_group_size: 1
    .uses_dynamic_stack: false
    .vgpr_count:     28
    .vgpr_spill_count: 0
    .wavefront_size: 32
    .workgroup_processor_mode: 1
  - .args:
      - .offset:         0
        .size:           8
        .value_kind:     by_value
      - .offset:         8
        .size:           4
        .value_kind:     by_value
      - .offset:         16
        .size:           16
        .value_kind:     by_value
      - .offset:         32
        .size:           8
        .value_kind:     by_value
      - .actual_access:  read_only
        .address_space:  global
        .offset:         40
        .size:           8
        .value_kind:     global_buffer
      - .actual_access:  read_only
        .address_space:  global
        .offset:         48
        .size:           8
        .value_kind:     global_buffer
      - .actual_access:  read_only
        .address_space:  global
        .offset:         56
        .size:           8
        .value_kind:     global_buffer
      - .actual_access:  read_only
        .address_space:  global
        .offset:         64
        .size:           8
        .value_kind:     global_buffer
      - .actual_access:  read_only
        .address_space:  global
        .offset:         72
        .size:           8
        .value_kind:     global_buffer
      - .actual_access:  read_only
        .address_space:  global
        .offset:         80
        .size:           8
        .value_kind:     global_buffer
      - .offset:         88
        .size:           16
        .value_kind:     by_value
      - .address_space:  global
        .offset:         104
        .size:           8
        .value_kind:     global_buffer
      - .offset:         112
        .size:           4
        .value_kind:     by_value
      - .offset:         116
        .size:           1
        .value_kind:     by_value
    .group_segment_fixed_size: 800
    .kernarg_segment_align: 8
    .kernarg_segment_size: 120
    .language:       OpenCL C
    .language_version:
      - 2
      - 0
    .max_flat_workgroup_size: 50
    .name:           _ZN9rocsparseL18bsrxmvn_5x5_kernelILj50E21rocsparse_complex_numIdEllS1_IfES2_S2_EEvT2_20rocsparse_direction_NS_24const_host_device_scalarIT0_EES4_PKS4_PKT1_SD_SA_PKT3_PKT4_S8_PT5_21rocsparse_index_base_b
    .private_segment_fixed_size: 0
    .sgpr_count:     22
    .sgpr_spill_count: 0
    .symbol:         _ZN9rocsparseL18bsrxmvn_5x5_kernelILj50E21rocsparse_complex_numIdEllS1_IfES2_S2_EEvT2_20rocsparse_direction_NS_24const_host_device_scalarIT0_EES4_PKS4_PKT1_SD_SA_PKT3_PKT4_S8_PT5_21rocsparse_index_base_b.kd
    .uniform_work_group_size: 1
    .uses_dynamic_stack: false
    .vgpr_count:     30
    .vgpr_spill_count: 0
    .wavefront_size: 32
    .workgroup_processor_mode: 1
amdhsa.target:   amdgcn-amd-amdhsa--gfx1030
amdhsa.version:
  - 1
  - 2
...

	.end_amdgpu_metadata
